;; amdgpu-corpus repo=ROCm/rocFFT kind=compiled arch=gfx906 opt=O3
	.text
	.amdgcn_target "amdgcn-amd-amdhsa--gfx906"
	.amdhsa_code_object_version 6
	.protected	fft_rtc_back_len3840_factors_10_6_2_2_2_2_2_2_wgs_128_tpt_128_halfLds_dp_op_CI_CI_unitstride_sbrr_R2C_dirReg ; -- Begin function fft_rtc_back_len3840_factors_10_6_2_2_2_2_2_2_wgs_128_tpt_128_halfLds_dp_op_CI_CI_unitstride_sbrr_R2C_dirReg
	.globl	fft_rtc_back_len3840_factors_10_6_2_2_2_2_2_2_wgs_128_tpt_128_halfLds_dp_op_CI_CI_unitstride_sbrr_R2C_dirReg
	.p2align	8
	.type	fft_rtc_back_len3840_factors_10_6_2_2_2_2_2_2_wgs_128_tpt_128_halfLds_dp_op_CI_CI_unitstride_sbrr_R2C_dirReg,@function
fft_rtc_back_len3840_factors_10_6_2_2_2_2_2_2_wgs_128_tpt_128_halfLds_dp_op_CI_CI_unitstride_sbrr_R2C_dirReg: ; @fft_rtc_back_len3840_factors_10_6_2_2_2_2_2_2_wgs_128_tpt_128_halfLds_dp_op_CI_CI_unitstride_sbrr_R2C_dirReg
; %bb.0:
	s_load_dwordx4 s[12:15], s[4:5], 0x0
	s_load_dwordx4 s[8:11], s[4:5], 0x58
	;; [unrolled: 1-line block ×3, first 2 shown]
	v_mov_b32_e32 v4, 0
	v_mov_b32_e32 v2, 0
	s_waitcnt lgkmcnt(0)
	v_cmp_lt_u64_e64 s[0:1], s[14:15], 2
	v_mov_b32_e32 v6, s6
	v_mov_b32_e32 v7, v4
	s_and_b64 vcc, exec, s[0:1]
	v_mov_b32_e32 v3, 0
	s_cbranch_vccnz .LBB0_8
; %bb.1:
	s_load_dwordx2 s[0:1], s[4:5], 0x10
	s_add_u32 s2, s18, 8
	s_addc_u32 s3, s19, 0
	s_add_u32 s6, s16, 8
	v_mov_b32_e32 v2, 0
	s_addc_u32 s7, s17, 0
	v_mov_b32_e32 v3, 0
	s_waitcnt lgkmcnt(0)
	s_add_u32 s20, s0, 8
	v_mov_b32_e32 v91, v3
	s_addc_u32 s21, s1, 0
	s_mov_b64 s[22:23], 1
	v_mov_b32_e32 v90, v2
.LBB0_2:                                ; =>This Inner Loop Header: Depth=1
	s_load_dwordx2 s[24:25], s[20:21], 0x0
                                        ; implicit-def: $vgpr92_vgpr93
	s_waitcnt lgkmcnt(0)
	v_or_b32_e32 v5, s25, v7
	v_cmp_ne_u64_e32 vcc, 0, v[4:5]
	s_and_saveexec_b64 s[0:1], vcc
	s_xor_b64 s[26:27], exec, s[0:1]
	s_cbranch_execz .LBB0_4
; %bb.3:                                ;   in Loop: Header=BB0_2 Depth=1
	v_cvt_f32_u32_e32 v1, s24
	v_cvt_f32_u32_e32 v5, s25
	s_sub_u32 s0, 0, s24
	s_subb_u32 s1, 0, s25
	v_mac_f32_e32 v1, 0x4f800000, v5
	v_rcp_f32_e32 v1, v1
	v_mul_f32_e32 v1, 0x5f7ffffc, v1
	v_mul_f32_e32 v5, 0x2f800000, v1
	v_trunc_f32_e32 v5, v5
	v_mac_f32_e32 v1, 0xcf800000, v5
	v_cvt_u32_f32_e32 v5, v5
	v_cvt_u32_f32_e32 v1, v1
	v_mul_lo_u32 v8, s0, v5
	v_mul_hi_u32 v9, s0, v1
	v_mul_lo_u32 v11, s1, v1
	v_mul_lo_u32 v10, s0, v1
	v_add_u32_e32 v8, v9, v8
	v_add_u32_e32 v8, v8, v11
	v_mul_hi_u32 v9, v1, v10
	v_mul_lo_u32 v11, v1, v8
	v_mul_hi_u32 v13, v1, v8
	v_mul_hi_u32 v12, v5, v10
	v_mul_lo_u32 v10, v5, v10
	v_mul_hi_u32 v14, v5, v8
	v_add_co_u32_e32 v9, vcc, v9, v11
	v_addc_co_u32_e32 v11, vcc, 0, v13, vcc
	v_mul_lo_u32 v8, v5, v8
	v_add_co_u32_e32 v9, vcc, v9, v10
	v_addc_co_u32_e32 v9, vcc, v11, v12, vcc
	v_addc_co_u32_e32 v10, vcc, 0, v14, vcc
	v_add_co_u32_e32 v8, vcc, v9, v8
	v_addc_co_u32_e32 v9, vcc, 0, v10, vcc
	v_add_co_u32_e32 v1, vcc, v1, v8
	v_addc_co_u32_e32 v5, vcc, v5, v9, vcc
	v_mul_lo_u32 v8, s0, v5
	v_mul_hi_u32 v9, s0, v1
	v_mul_lo_u32 v10, s1, v1
	v_mul_lo_u32 v11, s0, v1
	v_add_u32_e32 v8, v9, v8
	v_add_u32_e32 v8, v8, v10
	v_mul_lo_u32 v12, v1, v8
	v_mul_hi_u32 v13, v1, v11
	v_mul_hi_u32 v14, v1, v8
	;; [unrolled: 1-line block ×3, first 2 shown]
	v_mul_lo_u32 v11, v5, v11
	v_mul_hi_u32 v9, v5, v8
	v_add_co_u32_e32 v12, vcc, v13, v12
	v_addc_co_u32_e32 v13, vcc, 0, v14, vcc
	v_mul_lo_u32 v8, v5, v8
	v_add_co_u32_e32 v11, vcc, v12, v11
	v_addc_co_u32_e32 v10, vcc, v13, v10, vcc
	v_addc_co_u32_e32 v9, vcc, 0, v9, vcc
	v_add_co_u32_e32 v8, vcc, v10, v8
	v_addc_co_u32_e32 v9, vcc, 0, v9, vcc
	v_add_co_u32_e32 v1, vcc, v1, v8
	v_addc_co_u32_e32 v5, vcc, v5, v9, vcc
	v_mad_u64_u32 v[8:9], s[0:1], v6, v5, 0
	v_mul_hi_u32 v10, v6, v1
	v_add_co_u32_e32 v12, vcc, v10, v8
	v_addc_co_u32_e32 v13, vcc, 0, v9, vcc
	v_mad_u64_u32 v[8:9], s[0:1], v7, v1, 0
	v_mad_u64_u32 v[10:11], s[0:1], v7, v5, 0
	v_add_co_u32_e32 v1, vcc, v12, v8
	v_addc_co_u32_e32 v1, vcc, v13, v9, vcc
	v_addc_co_u32_e32 v5, vcc, 0, v11, vcc
	v_add_co_u32_e32 v1, vcc, v1, v10
	v_addc_co_u32_e32 v5, vcc, 0, v5, vcc
	v_mul_lo_u32 v10, s25, v1
	v_mul_lo_u32 v11, s24, v5
	v_mad_u64_u32 v[8:9], s[0:1], s24, v1, 0
	v_add3_u32 v9, v9, v11, v10
	v_sub_u32_e32 v10, v7, v9
	v_mov_b32_e32 v11, s25
	v_sub_co_u32_e32 v8, vcc, v6, v8
	v_subb_co_u32_e64 v10, s[0:1], v10, v11, vcc
	v_subrev_co_u32_e64 v11, s[0:1], s24, v8
	v_subbrev_co_u32_e64 v10, s[0:1], 0, v10, s[0:1]
	v_cmp_le_u32_e64 s[0:1], s25, v10
	v_cndmask_b32_e64 v12, 0, -1, s[0:1]
	v_cmp_le_u32_e64 s[0:1], s24, v11
	v_cndmask_b32_e64 v11, 0, -1, s[0:1]
	v_cmp_eq_u32_e64 s[0:1], s25, v10
	v_cndmask_b32_e64 v10, v12, v11, s[0:1]
	v_add_co_u32_e64 v11, s[0:1], 2, v1
	v_addc_co_u32_e64 v12, s[0:1], 0, v5, s[0:1]
	v_add_co_u32_e64 v13, s[0:1], 1, v1
	v_addc_co_u32_e64 v14, s[0:1], 0, v5, s[0:1]
	v_subb_co_u32_e32 v9, vcc, v7, v9, vcc
	v_cmp_ne_u32_e64 s[0:1], 0, v10
	v_cmp_le_u32_e32 vcc, s25, v9
	v_cndmask_b32_e64 v10, v14, v12, s[0:1]
	v_cndmask_b32_e64 v12, 0, -1, vcc
	v_cmp_le_u32_e32 vcc, s24, v8
	v_cndmask_b32_e64 v8, 0, -1, vcc
	v_cmp_eq_u32_e32 vcc, s25, v9
	v_cndmask_b32_e32 v8, v12, v8, vcc
	v_cmp_ne_u32_e32 vcc, 0, v8
	v_cndmask_b32_e32 v93, v5, v10, vcc
	v_cndmask_b32_e64 v5, v13, v11, s[0:1]
	v_cndmask_b32_e32 v92, v1, v5, vcc
.LBB0_4:                                ;   in Loop: Header=BB0_2 Depth=1
	s_andn2_saveexec_b64 s[0:1], s[26:27]
	s_cbranch_execz .LBB0_6
; %bb.5:                                ;   in Loop: Header=BB0_2 Depth=1
	v_cvt_f32_u32_e32 v1, s24
	s_sub_i32 s26, 0, s24
	v_mov_b32_e32 v93, v4
	v_rcp_iflag_f32_e32 v1, v1
	v_mul_f32_e32 v1, 0x4f7ffffe, v1
	v_cvt_u32_f32_e32 v1, v1
	v_mul_lo_u32 v5, s26, v1
	v_mul_hi_u32 v5, v1, v5
	v_add_u32_e32 v1, v1, v5
	v_mul_hi_u32 v1, v6, v1
	v_mul_lo_u32 v5, v1, s24
	v_add_u32_e32 v8, 1, v1
	v_sub_u32_e32 v5, v6, v5
	v_subrev_u32_e32 v9, s24, v5
	v_cmp_le_u32_e32 vcc, s24, v5
	v_cndmask_b32_e32 v5, v5, v9, vcc
	v_cndmask_b32_e32 v1, v1, v8, vcc
	v_add_u32_e32 v8, 1, v1
	v_cmp_le_u32_e32 vcc, s24, v5
	v_cndmask_b32_e32 v92, v1, v8, vcc
.LBB0_6:                                ;   in Loop: Header=BB0_2 Depth=1
	s_or_b64 exec, exec, s[0:1]
	v_mul_lo_u32 v1, v93, s24
	v_mul_lo_u32 v5, v92, s25
	v_mad_u64_u32 v[8:9], s[0:1], v92, s24, 0
	s_load_dwordx2 s[0:1], s[6:7], 0x0
	s_load_dwordx2 s[24:25], s[2:3], 0x0
	v_add3_u32 v1, v9, v5, v1
	v_sub_co_u32_e32 v5, vcc, v6, v8
	v_subb_co_u32_e32 v1, vcc, v7, v1, vcc
	s_waitcnt lgkmcnt(0)
	v_mul_lo_u32 v6, s0, v1
	v_mul_lo_u32 v7, s1, v5
	v_mad_u64_u32 v[2:3], s[0:1], s0, v5, v[2:3]
	s_add_u32 s22, s22, 1
	s_addc_u32 s23, s23, 0
	s_add_u32 s2, s2, 8
	v_mul_lo_u32 v1, s24, v1
	v_mul_lo_u32 v8, s25, v5
	v_mad_u64_u32 v[90:91], s[0:1], s24, v5, v[90:91]
	v_add3_u32 v3, v7, v3, v6
	s_addc_u32 s3, s3, 0
	v_mov_b32_e32 v5, s14
	s_add_u32 s6, s6, 8
	v_mov_b32_e32 v6, s15
	s_addc_u32 s7, s7, 0
	v_cmp_ge_u64_e32 vcc, s[22:23], v[5:6]
	s_add_u32 s20, s20, 8
	v_add3_u32 v91, v8, v91, v1
	s_addc_u32 s21, s21, 0
	s_cbranch_vccnz .LBB0_9
; %bb.7:                                ;   in Loop: Header=BB0_2 Depth=1
	v_mov_b32_e32 v6, v92
	v_mov_b32_e32 v7, v93
	s_branch .LBB0_2
.LBB0_8:
	v_mov_b32_e32 v91, v3
	v_mov_b32_e32 v93, v7
	;; [unrolled: 1-line block ×4, first 2 shown]
.LBB0_9:
	s_load_dwordx2 s[0:1], s[4:5], 0x28
	s_lshl_b64 s[6:7], s[14:15], 3
	s_add_u32 s2, s18, s6
	s_addc_u32 s3, s19, s7
                                        ; implicit-def: $vgpr96
                                        ; implicit-def: $vgpr94
                                        ; implicit-def: $vgpr114
                                        ; implicit-def: $vgpr112
                                        ; implicit-def: $vgpr116
                                        ; implicit-def: $vgpr118
                                        ; implicit-def: $vgpr120
                                        ; implicit-def: $vgpr104
                                        ; implicit-def: $vgpr100
                                        ; implicit-def: $vgpr98
                                        ; implicit-def: $vgpr110
                                        ; implicit-def: $vgpr108
                                        ; implicit-def: $vgpr102
                                        ; implicit-def: $vgpr106
	s_waitcnt lgkmcnt(0)
	v_cmp_gt_u64_e32 vcc, s[0:1], v[92:93]
	v_cmp_le_u64_e64 s[0:1], s[0:1], v[92:93]
	s_and_saveexec_b64 s[4:5], s[0:1]
	s_xor_b64 s[0:1], exec, s[4:5]
	s_cbranch_execz .LBB0_11
; %bb.10:
	v_mov_b32_e32 v1, 0
	v_or_b32_e32 v96, 0x80, v0
	v_or_b32_e32 v94, 0x100, v0
	;; [unrolled: 1-line block ×13, first 2 shown]
	v_mov_b32_e32 v97, v1
	v_mov_b32_e32 v95, v1
	;; [unrolled: 1-line block ×13, first 2 shown]
	v_or_b32_e32 v106, 0x700, v0
	v_mov_b32_e32 v107, v1
                                        ; implicit-def: $vgpr2_vgpr3
.LBB0_11:
	s_andn2_saveexec_b64 s[4:5], s[0:1]
	s_cbranch_execz .LBB0_13
; %bb.12:
	s_add_u32 s0, s16, s6
	s_addc_u32 s1, s17, s7
	s_load_dwordx2 s[0:1], s[0:1], 0x0
	v_lshlrev_b64 v[1:2], 4, v[2:3]
	v_mov_b32_e32 v8, s9
	v_lshlrev_b32_e32 v99, 4, v0
	v_or_b32_e32 v94, 0x100, v0
	s_waitcnt lgkmcnt(0)
	v_mul_lo_u32 v6, s1, v92
	v_mul_lo_u32 v7, s0, v93
	v_mad_u64_u32 v[4:5], s[0:1], s0, v92, 0
	v_or_b32_e32 v116, 0x180, v0
	v_or_b32_e32 v118, 0x200, v0
	v_add3_u32 v5, v5, v7, v6
	v_lshlrev_b64 v[3:4], 4, v[4:5]
	v_lshlrev_b32_e32 v21, 4, v118
	v_add_co_u32_e64 v3, s[0:1], s8, v3
	v_addc_co_u32_e64 v4, s[0:1], v8, v4, s[0:1]
	v_add_co_u32_e64 v89, s[0:1], v3, v1
	v_addc_co_u32_e64 v97, s[0:1], v4, v2, s[0:1]
	;; [unrolled: 2-line block ×3, first 2 shown]
	global_load_dwordx4 v[1:4], v[9:10], off
	global_load_dwordx4 v[5:8], v[9:10], off offset:2048
	v_lshlrev_b32_e32 v9, 4, v94
	v_add_co_u32_e64 v17, s[0:1], v89, v9
	v_lshlrev_b32_e32 v10, 4, v116
	v_addc_co_u32_e64 v18, s[0:1], 0, v97, s[0:1]
	v_add_co_u32_e64 v19, s[0:1], v89, v10
	v_addc_co_u32_e64 v20, s[0:1], 0, v97, s[0:1]
	v_or_b32_e32 v114, 0x280, v0
	v_add_co_u32_e64 v25, s[0:1], v89, v21
	global_load_dwordx4 v[9:12], v[17:18], off
	global_load_dwordx4 v[13:16], v[19:20], off
	v_addc_co_u32_e64 v26, s[0:1], 0, v97, s[0:1]
	v_lshlrev_b32_e32 v17, 4, v114
	v_add_co_u32_e64 v27, s[0:1], v89, v17
	v_or_b32_e32 v120, 0x300, v0
	v_addc_co_u32_e64 v28, s[0:1], 0, v97, s[0:1]
	global_load_dwordx4 v[17:20], v[25:26], off
	global_load_dwordx4 v[21:24], v[27:28], off
	v_lshlrev_b32_e32 v25, 4, v120
	v_add_co_u32_e64 v33, s[0:1], v89, v25
	v_or_b32_e32 v104, 0x380, v0
	v_addc_co_u32_e64 v34, s[0:1], 0, v97, s[0:1]
	v_lshlrev_b32_e32 v101, 4, v104
	v_add_co_u32_e64 v35, s[0:1], v89, v101
	v_or_b32_e32 v100, 0x400, v0
	v_addc_co_u32_e64 v36, s[0:1], 0, v97, s[0:1]
	global_load_dwordx4 v[25:28], v[33:34], off
	global_load_dwordx4 v[29:32], v[35:36], off
	v_lshlrev_b32_e32 v33, 4, v100
	v_or_b32_e32 v98, 0x480, v0
	v_add_co_u32_e64 v41, s[0:1], v89, v33
	v_lshlrev_b32_e32 v34, 4, v98
	v_addc_co_u32_e64 v42, s[0:1], 0, v97, s[0:1]
	v_add_co_u32_e64 v43, s[0:1], v89, v34
	v_addc_co_u32_e64 v44, s[0:1], 0, v97, s[0:1]
	v_or_b32_e32 v103, 0x7800, v99
	v_add_co_u32_e64 v65, s[0:1], v89, v103
	v_addc_co_u32_e64 v66, s[0:1], 0, v97, s[0:1]
	v_or_b32_e32 v105, 0xb800, v99
	v_add_co_u32_e64 v95, s[0:1], v89, v105
	v_or_b32_e32 v112, 0x500, v0
	global_load_dwordx4 v[33:36], v[41:42], off
	global_load_dwordx4 v[37:40], v[43:44], off
	v_addc_co_u32_e64 v96, s[0:1], 0, v97, s[0:1]
	v_lshlrev_b32_e32 v41, 4, v112
	v_add_co_u32_e64 v49, s[0:1], v89, v41
	v_or_b32_e32 v110, 0x580, v0
	v_addc_co_u32_e64 v50, s[0:1], 0, v97, s[0:1]
	v_lshlrev_b32_e32 v41, 4, v110
	v_add_co_u32_e64 v51, s[0:1], v89, v41
	v_or_b32_e32 v108, 0x600, v0
	v_addc_co_u32_e64 v52, s[0:1], 0, v97, s[0:1]
	global_load_dwordx4 v[41:44], v[49:50], off
	global_load_dwordx4 v[45:48], v[51:52], off
	v_lshlrev_b32_e32 v49, 4, v108
	v_add_co_u32_e64 v57, s[0:1], v89, v49
	v_or_b32_e32 v102, 0x680, v0
	v_addc_co_u32_e64 v58, s[0:1], 0, v97, s[0:1]
	v_lshlrev_b32_e32 v49, 4, v102
	v_add_co_u32_e64 v59, s[0:1], v89, v49
	v_or_b32_e32 v106, 0x700, v0
	v_addc_co_u32_e64 v60, s[0:1], 0, v97, s[0:1]
	global_load_dwordx4 v[49:52], v[57:58], off
	global_load_dwordx4 v[53:56], v[59:60], off
	v_lshlrev_b32_e32 v57, 4, v106
	v_add_co_u32_e64 v67, s[0:1], v89, v57
	v_addc_co_u32_e64 v68, s[0:1], 0, v97, s[0:1]
	global_load_dwordx4 v[57:60], v[65:66], off
	global_load_dwordx4 v[61:64], v[67:68], off
	v_or_b32_e32 v65, 0x8000, v99
	v_add_co_u32_e64 v73, s[0:1], v89, v65
	v_addc_co_u32_e64 v74, s[0:1], 0, v97, s[0:1]
	v_or_b32_e32 v65, 0x8800, v99
	v_add_co_u32_e64 v75, s[0:1], v89, v65
	v_addc_co_u32_e64 v76, s[0:1], 0, v97, s[0:1]
	global_load_dwordx4 v[65:68], v[73:74], off
	global_load_dwordx4 v[69:72], v[75:76], off
	v_or_b32_e32 v73, 0x9000, v99
	v_add_co_u32_e64 v81, s[0:1], v89, v73
	v_addc_co_u32_e64 v82, s[0:1], 0, v97, s[0:1]
	v_or_b32_e32 v73, 0x9800, v99
	;; [unrolled: 8-line block ×3, first 2 shown]
	v_add_co_u32_e64 v123, s[0:1], v89, v81
	v_addc_co_u32_e64 v124, s[0:1], 0, v97, s[0:1]
	v_or_b32_e32 v107, 0xb000, v99
	v_add_co_u32_e64 v129, s[0:1], v89, v107
	global_load_dwordx4 v[81:84], v[121:122], off
	global_load_dwordx4 v[85:88], v[123:124], off
	v_addc_co_u32_e64 v130, s[0:1], 0, v97, s[0:1]
	global_load_dwordx4 v[121:124], v[95:96], off
	global_load_dwordx4 v[125:128], v[129:130], off
	v_or_b32_e32 v95, 0xc000, v99
	v_add_co_u32_e64 v95, s[0:1], v89, v95
	v_addc_co_u32_e64 v96, s[0:1], 0, v97, s[0:1]
	v_or_b32_e32 v107, 0xc800, v99
	v_add_co_u32_e64 v133, s[0:1], v89, v107
	v_addc_co_u32_e64 v134, s[0:1], 0, v97, s[0:1]
	global_load_dwordx4 v[129:132], v[95:96], off
	s_nop 0
	global_load_dwordx4 v[133:136], v[133:134], off
	v_or_b32_e32 v95, 0xd000, v99
	v_add_co_u32_e64 v95, s[0:1], v89, v95
	v_addc_co_u32_e64 v96, s[0:1], 0, v97, s[0:1]
	v_or_b32_e32 v107, 0xd800, v99
	v_add_co_u32_e64 v141, s[0:1], v89, v107
	v_addc_co_u32_e64 v142, s[0:1], 0, v97, s[0:1]
	global_load_dwordx4 v[137:140], v[95:96], off
	s_nop 0
	;; [unrolled: 9-line block ×3, first 2 shown]
	global_load_dwordx4 v[149:152], v[149:150], off
	v_add_u32_e32 v89, 0, v99
	s_waitcnt vmcnt(29)
	ds_write_b128 v89, v[1:4]
	s_waitcnt vmcnt(28)
	ds_write_b128 v89, v[5:8] offset:2048
	s_waitcnt vmcnt(27)
	ds_write_b128 v89, v[9:12] offset:4096
	;; [unrolled: 2-line block ×6, first 2 shown]
	v_add_u32_e32 v1, 0, v101
	s_waitcnt vmcnt(22)
	ds_write_b128 v1, v[29:32]
	s_waitcnt vmcnt(21)
	ds_write_b128 v89, v[33:36] offset:16384
	s_waitcnt vmcnt(20)
	ds_write_b128 v89, v[37:40] offset:18432
	v_add_u32_e32 v1, 0, v103
	v_or_b32_e32 v96, 0x80, v0
	s_waitcnt vmcnt(15)
	ds_write_b128 v1, v[57:60]
	v_add_u32_e32 v1, 0, v105
	s_waitcnt vmcnt(7)
	ds_write_b128 v1, v[121:124]
	ds_write_b128 v89, v[41:44] offset:20480
	ds_write_b128 v89, v[45:48] offset:22528
	;; [unrolled: 1-line block ×11, first 2 shown]
	s_waitcnt vmcnt(6)
	ds_write_b128 v89, v[125:128] offset:45056
	s_waitcnt vmcnt(5)
	ds_write_b128 v89, v[129:132] offset:49152
	;; [unrolled: 2-line block ×7, first 2 shown]
	v_mov_b32_e32 v1, 0
	v_mov_b32_e32 v97, v1
	;; [unrolled: 1-line block ×15, first 2 shown]
.LBB0_13:
	s_or_b64 exec, exec, s[4:5]
	v_lshlrev_b32_e32 v123, 4, v0
	v_add_u32_e32 v122, 0, v123
	s_load_dwordx2 s[2:3], s[2:3], 0x0
	s_waitcnt lgkmcnt(0)
	s_barrier
	ds_read_b128 v[2:5], v122 offset:12288
	ds_read_b128 v[26:29], v122
	ds_read_b128 v[10:13], v122 offset:2048
	ds_read_b128 v[46:49], v122 offset:14336
	;; [unrolled: 1-line block ×6, first 2 shown]
	s_waitcnt lgkmcnt(6)
	v_add_f64 v[18:19], v[26:27], v[2:3]
	v_add_f64 v[20:21], v[28:29], v[4:5]
	ds_read_b128 v[30:33], v122 offset:18432
	ds_read_b128 v[34:37], v122 offset:6144
	s_waitcnt lgkmcnt(4)
	v_add_f64 v[62:63], v[6:7], v[14:15]
	v_add_f64 v[72:73], v[6:7], -v[14:15]
	ds_read_b128 v[58:61], v122 offset:51200
	v_add_f64 v[64:65], v[8:9], -v[16:17]
	v_add_f64 v[22:23], v[18:19], v[6:7]
	v_add_f64 v[24:25], v[20:21], v[8:9]
	ds_read_b128 v[18:21], v122 offset:49152
	s_waitcnt lgkmcnt(2)
	v_add_f64 v[86:87], v[36:37], v[32:33]
	v_add_f64 v[66:67], v[2:3], -v[6:7]
	v_add_f64 v[68:69], v[6:7], -v[2:3]
	v_add_f64 v[70:71], v[8:9], v[16:17]
	s_waitcnt lgkmcnt(0)
	v_add_f64 v[84:85], v[18:19], -v[14:15]
	v_add_f64 v[42:43], v[22:23], v[14:15]
	v_add_f64 v[134:135], v[14:15], -v[18:19]
	v_add_f64 v[14:15], v[34:35], v[30:31]
	v_add_f64 v[74:75], v[4:5], -v[8:9]
	v_add_f64 v[76:77], v[8:9], -v[4:5]
	;; [unrolled: 1-line block ×3, first 2 shown]
	v_add_f64 v[80:81], v[2:3], v[18:19]
	v_add_f64 v[132:133], v[2:3], -v[18:19]
	v_add_f64 v[82:83], v[4:5], v[20:21]
	v_add_f64 v[44:45], v[24:25], v[16:17]
	ds_read_b128 v[2:5], v122 offset:4096
	ds_read_b128 v[6:9], v122 offset:16384
	;; [unrolled: 1-line block ×4, first 2 shown]
	v_add_f64 v[88:89], v[20:21], -v[16:17]
	v_add_f64 v[136:137], v[16:17], -v[20:21]
	v_add_f64 v[128:129], v[42:43], v[18:19]
	s_waitcnt lgkmcnt(1)
	v_add_f64 v[124:125], v[14:15], v[22:23]
	v_add_f64 v[86:87], v[86:87], v[24:25]
	s_waitcnt lgkmcnt(0)
	v_add_f64 v[126:127], v[22:23], v[38:39]
	v_add_f64 v[144:145], v[24:25], v[40:41]
	;; [unrolled: 1-line block ×3, first 2 shown]
	ds_read_b128 v[18:21], v122 offset:28672
	ds_read_b128 v[42:45], v122 offset:55296
	v_add_f64 v[140:141], v[30:31], -v[22:23]
	v_add_f64 v[142:143], v[22:23], -v[30:31]
	v_add_f64 v[124:125], v[124:125], v[38:39]
	v_add_f64 v[86:87], v[86:87], v[40:41]
	s_waitcnt lgkmcnt(0)
	v_add_f64 v[152:153], v[32:33], -v[44:45]
	v_add_f64 v[154:155], v[30:31], v[42:43]
	v_add_f64 v[30:31], v[30:31], -v[42:43]
	v_fma_f64 v[144:145], v[144:145], -0.5, v[36:37]
	v_fma_f64 v[160:161], v[126:127], -0.5, v[34:35]
	s_mov_b32 s8, 0x134454ff
	s_mov_b32 s9, 0xbfee6f0e
	s_mov_b32 s1, 0x3fee6f0e
	s_mov_b32 s0, s8
	v_add_f64 v[138:139], v[24:25], -v[40:41]
	v_add_f64 v[146:147], v[22:23], -v[38:39]
	;; [unrolled: 1-line block ×4, first 2 shown]
	v_add_f64 v[32:33], v[32:33], v[44:45]
	v_add_f64 v[156:157], v[42:43], -v[38:39]
	v_add_f64 v[38:39], v[38:39], -v[42:43]
	;; [unrolled: 1-line block ×4, first 2 shown]
	v_add_f64 v[42:43], v[124:125], v[42:43]
	v_add_f64 v[44:45], v[86:87], v[44:45]
	v_fma_f64 v[86:87], v[30:31], s[0:1], v[144:145]
	v_fma_f64 v[124:125], v[152:153], s[8:9], v[160:161]
	s_mov_b32 s6, 0x4755a5e
	s_mov_b32 s7, 0xbfe2cf23
	;; [unrolled: 1-line block ×4, first 2 shown]
	v_add_f64 v[140:141], v[140:141], v[156:157]
	v_add_f64 v[148:149], v[148:149], v[158:159]
	v_fma_f64 v[86:87], v[146:147], s[4:5], v[86:87]
	v_fma_f64 v[62:63], v[62:63], -0.5, v[26:27]
	v_fma_f64 v[124:125], v[138:139], s[6:7], v[124:125]
	v_fma_f64 v[70:71], v[70:71], -0.5, v[28:29]
	v_fma_f64 v[32:33], v[32:33], -0.5, v[36:37]
	s_mov_b32 s14, 0x372fe950
	s_mov_b32 s15, 0x3fd3c6ef
	v_fma_f64 v[26:27], v[80:81], -0.5, v[26:27]
	v_fma_f64 v[28:29], v[82:83], -0.5, v[28:29]
	v_fma_f64 v[36:37], v[148:149], s[14:15], v[86:87]
	v_fma_f64 v[80:81], v[140:141], s[14:15], v[124:125]
	;; [unrolled: 1-line block ×4, first 2 shown]
	v_fma_f64 v[34:35], v[154:155], -0.5, v[34:35]
	v_add_f64 v[66:67], v[66:67], v[84:85]
	v_fma_f64 v[84:85], v[146:147], s[8:9], v[32:33]
	v_add_f64 v[74:75], v[74:75], v[88:89]
	v_mul_f64 v[88:89], v[36:37], s[6:7]
	v_mul_f64 v[124:125], v[80:81], s[4:5]
	v_fma_f64 v[82:83], v[64:65], s[6:7], v[82:83]
	v_fma_f64 v[86:87], v[72:73], s[4:5], v[86:87]
	v_add_f64 v[40:41], v[150:151], v[40:41]
	v_fma_f64 v[126:127], v[138:139], s[0:1], v[34:35]
	v_fma_f64 v[84:85], v[30:31], s[4:5], v[84:85]
	s_mov_b32 s20, 0x9b97f4a8
	s_mov_b32 s21, 0x3fe9e377
	v_fma_f64 v[80:81], v[80:81], s[20:21], v[88:89]
	v_fma_f64 v[36:37], v[36:37], s[20:21], v[124:125]
	;; [unrolled: 1-line block ×4, first 2 shown]
	v_add_f64 v[38:39], v[142:143], v[38:39]
	v_fma_f64 v[86:87], v[152:153], s[6:7], v[126:127]
	v_fma_f64 v[142:143], v[40:41], s[14:15], v[84:85]
	v_add_f64 v[124:125], v[128:129], v[42:43]
	v_add_f64 v[126:127], v[130:131], v[44:45]
	v_add_f64 v[82:83], v[128:129], -v[42:43]
	v_add_f64 v[84:85], v[130:131], -v[44:45]
	v_add_f64 v[128:129], v[88:89], v[80:81]
	v_add_f64 v[130:131], v[150:151], v[36:37]
	v_fma_f64 v[42:43], v[38:39], s[14:15], v[86:87]
	v_mul_f64 v[44:45], v[142:143], s[8:9]
	v_add_f64 v[86:87], v[88:89], -v[80:81]
	v_add_f64 v[88:89], v[150:151], -v[36:37]
	v_fma_f64 v[36:37], v[64:65], s[0:1], v[26:27]
	v_fma_f64 v[26:27], v[64:65], s[8:9], v[26:27]
	v_mul_f64 v[80:81], v[142:143], s[14:15]
	v_fma_f64 v[32:33], v[146:147], s[0:1], v[32:33]
	v_add_f64 v[68:69], v[68:69], v[134:135]
	v_fma_f64 v[44:45], v[42:43], s[14:15], v[44:45]
	v_fma_f64 v[34:35], v[138:139], s[8:9], v[34:35]
	;; [unrolled: 1-line block ×20, first 2 shown]
	v_add_f64 v[76:77], v[76:77], v[136:137]
	s_mov_b32 s17, 0xbfd3c6ef
	v_fma_f64 v[68:69], v[148:149], s[14:15], v[68:69]
	s_mov_b32 s16, s14
	v_fma_f64 v[28:29], v[132:133], s[6:7], v[28:29]
	v_mul_f64 v[70:71], v[30:31], s[8:9]
	v_mul_f64 v[30:31], v[30:31], s[16:17]
	s_mov_b32 s19, 0xbfe9e377
	s_mov_b32 s18, s20
	v_fma_f64 v[38:39], v[64:65], s[4:5], v[38:39]
	v_fma_f64 v[40:41], v[72:73], s[6:7], v[40:41]
	;; [unrolled: 1-line block ×3, first 2 shown]
	v_mul_f64 v[64:65], v[68:69], s[6:7]
	v_mul_f64 v[68:69], v[68:69], s[18:19]
	v_fma_f64 v[34:35], v[76:77], s[14:15], v[34:35]
	v_fma_f64 v[28:29], v[76:77], s[14:15], v[28:29]
	;; [unrolled: 1-line block ×8, first 2 shown]
	v_add_f64 v[132:133], v[36:37], v[44:45]
	v_add_f64 v[134:135], v[34:35], v[42:43]
	;; [unrolled: 1-line block ×4, first 2 shown]
	v_mul_u32_u24_e32 v156, 10, v0
	v_lshl_add_u32 v156, v156, 4, 0
	ds_read_b128 v[14:17], v122 offset:40960
	ds_read_b128 v[22:25], v122 offset:53248
	v_add_f64 v[136:137], v[36:37], -v[44:45]
	v_add_f64 v[138:139], v[34:35], -v[42:43]
	;; [unrolled: 1-line block ×4, first 2 shown]
	v_add_f64 v[148:149], v[32:33], v[40:41]
	v_add_f64 v[150:151], v[38:39], v[62:63]
	v_add_f64 v[152:153], v[32:33], -v[40:41]
	v_add_f64 v[154:155], v[38:39], -v[62:63]
	ds_read_b128 v[62:65], v122 offset:8192
	ds_read_b128 v[26:29], v122 offset:10240
	;; [unrolled: 1-line block ×10, first 2 shown]
	s_waitcnt lgkmcnt(0)
	s_barrier
	ds_write_b128 v156, v[124:127]
	ds_write_b128 v156, v[128:131] offset:16
	ds_write_b128 v156, v[132:135] offset:32
	;; [unrolled: 1-line block ×3, first 2 shown]
	v_add_f64 v[124:125], v[10:11], v[46:47]
	v_add_f64 v[126:127], v[12:13], v[48:49]
	ds_write_b128 v156, v[148:151] offset:64
	ds_write_b128 v156, v[82:85] offset:80
	;; [unrolled: 1-line block ×6, first 2 shown]
	v_add_f64 v[86:87], v[50:51], v[54:55]
	v_add_f64 v[88:89], v[52:53], -v[56:57]
	v_add_f64 v[128:129], v[52:53], v[56:57]
	v_add_f64 v[130:131], v[50:51], -v[54:55]
	v_add_f64 v[132:133], v[52:53], -v[48:49]
	v_add_f64 v[82:83], v[124:125], v[50:51]
	v_add_f64 v[84:85], v[126:127], v[52:53]
	v_add_f64 v[124:125], v[46:47], -v[50:51]
	v_add_f64 v[126:127], v[50:51], -v[46:47]
	;; [unrolled: 1-line block ×4, first 2 shown]
	v_add_f64 v[52:53], v[46:47], v[58:59]
	v_add_f64 v[136:137], v[46:47], -v[58:59]
	v_add_f64 v[46:47], v[48:49], v[60:61]
	v_add_f64 v[48:49], v[82:83], v[54:55]
	;; [unrolled: 1-line block ×4, first 2 shown]
	v_add_f64 v[84:85], v[58:59], -v[54:55]
	v_add_f64 v[142:143], v[54:55], -v[58:59]
	;; [unrolled: 1-line block ×4, first 2 shown]
	v_add_f64 v[140:141], v[64:65], v[76:77]
	v_add_f64 v[48:49], v[48:49], v[58:59]
	;; [unrolled: 1-line block ×6, first 2 shown]
	v_add_f64 v[150:151], v[74:75], -v[66:67]
	v_add_f64 v[154:155], v[76:77], -v[68:69]
	v_add_f64 v[82:83], v[140:141], v[80:81]
	v_add_f64 v[140:141], v[80:81], -v[72:73]
	v_add_f64 v[146:147], v[74:75], -v[78:79]
	v_fma_f64 v[58:59], v[58:59], -0.5, v[64:65]
	v_add_f64 v[148:149], v[78:79], -v[74:75]
	v_fma_f64 v[138:139], v[138:139], -0.5, v[62:63]
	v_add_f64 v[78:79], v[78:79], -v[70:71]
	v_add_f64 v[152:153], v[76:77], -v[80:81]
	;; [unrolled: 1-line block ×3, first 2 shown]
	v_add_f64 v[60:61], v[60:61], v[70:71]
	v_add_f64 v[160:161], v[66:67], -v[70:71]
	v_fma_f64 v[158:159], v[150:151], s[0:1], v[58:59]
	v_add_f64 v[80:81], v[80:81], -v[76:77]
	v_fma_f64 v[162:163], v[154:155], s[8:9], v[138:139]
	v_add_f64 v[74:75], v[74:75], v[66:67]
	v_add_f64 v[76:77], v[76:77], v[68:69]
	;; [unrolled: 1-line block ×3, first 2 shown]
	v_add_f64 v[70:71], v[70:71], -v[66:67]
	v_add_f64 v[152:153], v[152:153], v[156:157]
	v_fma_f64 v[156:157], v[78:79], s[4:5], v[158:159]
	v_add_f64 v[60:61], v[60:61], v[66:67]
	v_add_f64 v[66:67], v[146:147], v[160:161]
	v_fma_f64 v[146:147], v[140:141], s[6:7], v[162:163]
	v_fma_f64 v[86:87], v[86:87], -0.5, v[10:11]
	v_add_f64 v[72:73], v[72:73], -v[68:69]
	v_fma_f64 v[128:129], v[128:129], -0.5, v[12:13]
	v_add_f64 v[68:69], v[82:83], v[68:69]
	v_fma_f64 v[82:83], v[152:153], s[14:15], v[156:157]
	v_fma_f64 v[156:157], v[52:53], -0.5, v[10:11]
	v_fma_f64 v[158:159], v[46:47], -0.5, v[12:13]
	;; [unrolled: 1-line block ×3, first 2 shown]
	v_fma_f64 v[12:13], v[66:67], s[14:15], v[146:147]
	v_fma_f64 v[10:11], v[134:135], s[8:9], v[86:87]
	;; [unrolled: 1-line block ×3, first 2 shown]
	v_fma_f64 v[62:63], v[74:75], -0.5, v[62:63]
	v_mul_f64 v[52:53], v[82:83], s[6:7]
	v_add_f64 v[74:75], v[124:125], v[84:85]
	v_add_f64 v[76:77], v[50:51], v[54:55]
	v_fma_f64 v[50:51], v[78:79], s[8:9], v[64:65]
	v_mul_f64 v[54:55], v[12:13], s[4:5]
	v_fma_f64 v[84:85], v[88:89], s[6:7], v[10:11]
	v_fma_f64 v[46:47], v[130:131], s[4:5], v[46:47]
	v_add_f64 v[72:73], v[80:81], v[72:73]
	v_fma_f64 v[124:125], v[12:13], s[20:21], v[52:53]
	v_fma_f64 v[52:53], v[140:141], s[0:1], v[62:63]
	v_add_f64 v[10:11], v[48:49], v[60:61]
	v_fma_f64 v[50:51], v[150:151], s[4:5], v[50:51]
	v_fma_f64 v[80:81], v[82:83], s[20:21], v[54:55]
	;; [unrolled: 1-line block ×4, first 2 shown]
	v_add_f64 v[12:13], v[56:57], v[68:69]
	v_add_f64 v[70:71], v[148:149], v[70:71]
	v_fma_f64 v[84:85], v[154:155], s[6:7], v[52:53]
	v_add_f64 v[46:47], v[48:49], -v[60:61]
	v_fma_f64 v[60:61], v[72:73], s[14:15], v[50:51]
	v_add_f64 v[48:49], v[56:57], -v[68:69]
	v_add_f64 v[50:51], v[54:55], v[124:125]
	v_fma_f64 v[68:69], v[88:89], s[0:1], v[156:157]
	v_add_f64 v[54:55], v[54:55], -v[124:125]
	v_fma_f64 v[124:125], v[88:89], s[8:9], v[156:157]
	v_add_f64 v[52:53], v[82:83], v[80:81]
	v_fma_f64 v[84:85], v[70:71], s[14:15], v[84:85]
	v_mul_f64 v[146:147], v[60:61], s[8:9]
	v_add_f64 v[56:57], v[82:83], -v[80:81]
	v_mul_f64 v[60:61], v[60:61], s[14:15]
	v_add_f64 v[80:81], v[126:127], v[142:143]
	v_fma_f64 v[68:69], v[134:135], s[6:7], v[68:69]
	v_fma_f64 v[64:65], v[78:79], s[0:1], v[64:65]
	;; [unrolled: 1-line block ×5, first 2 shown]
	v_add_f64 v[82:83], v[132:133], v[144:145]
	v_fma_f64 v[84:85], v[84:85], s[0:1], v[60:61]
	v_fma_f64 v[60:61], v[140:141], s[8:9], v[62:63]
	;; [unrolled: 1-line block ×19, first 2 shown]
	v_mul_f64 v[86:87], v[64:65], s[8:9]
	v_mul_f64 v[64:65], v[64:65], s[16:17]
	v_fma_f64 v[68:69], v[82:83], s[14:15], v[68:69]
	v_fma_f64 v[66:67], v[66:67], s[14:15], v[124:125]
	v_mul_f64 v[88:89], v[58:59], s[6:7]
	v_mul_f64 v[58:59], v[58:59], s[18:19]
	v_fma_f64 v[72:73], v[130:131], s[6:7], v[72:73]
	v_fma_f64 v[78:79], v[82:83], s[14:15], v[78:79]
	;; [unrolled: 1-line block ×4, first 2 shown]
	v_add_f64 v[60:61], v[68:69], v[84:85]
	v_add_f64 v[64:65], v[68:69], -v[84:85]
	v_add_f64 v[84:85], v[2:3], v[6:7]
	v_fma_f64 v[130:131], v[66:67], s[4:5], v[58:59]
	v_add_f64 v[58:59], v[62:63], v[126:127]
	v_add_f64 v[62:63], v[62:63], -v[126:127]
	v_add_f64 v[126:127], v[4:5], v[8:9]
	v_fma_f64 v[124:125], v[74:75], s[14:15], v[70:71]
	v_fma_f64 v[128:129], v[76:77], s[14:15], v[72:73]
	;; [unrolled: 1-line block ×3, first 2 shown]
	v_add_f64 v[66:67], v[80:81], v[82:83]
	v_add_f64 v[70:71], v[80:81], -v[82:83]
	v_add_f64 v[82:83], v[84:85], v[18:19]
	v_add_f64 v[68:69], v[78:79], v[86:87]
	;; [unrolled: 1-line block ×3, first 2 shown]
	v_add_f64 v[72:73], v[78:79], -v[86:87]
	v_add_f64 v[76:77], v[128:129], v[130:131]
	v_add_f64 v[74:75], v[124:125], v[88:89]
	v_add_f64 v[78:79], v[124:125], -v[88:89]
	v_add_f64 v[80:81], v[128:129], -v[130:131]
	v_add_f64 v[86:87], v[18:19], v[14:15]
	v_add_f64 v[88:89], v[20:21], -v[16:17]
	v_add_f64 v[124:125], v[6:7], -v[18:19]
	v_add_f64 v[126:127], v[18:19], -v[6:7]
	v_add_f64 v[128:129], v[20:21], v[16:17]
	v_add_f64 v[130:131], v[18:19], -v[14:15]
	v_add_f64 v[18:19], v[8:9], -v[20:21]
	;; [unrolled: 1-line block ×4, first 2 shown]
	v_add_f64 v[20:21], v[6:7], v[22:23]
	v_add_f64 v[136:137], v[6:7], -v[22:23]
	v_add_f64 v[6:7], v[8:9], v[24:25]
	v_add_f64 v[8:9], v[82:83], v[14:15]
	;; [unrolled: 1-line block ×4, first 2 shown]
	v_add_f64 v[84:85], v[22:23], -v[14:15]
	v_add_f64 v[142:143], v[14:15], -v[22:23]
	;; [unrolled: 1-line block ×4, first 2 shown]
	v_add_f64 v[140:141], v[28:29], v[40:41]
	v_add_f64 v[8:9], v[8:9], v[22:23]
	;; [unrolled: 1-line block ×6, first 2 shown]
	v_add_f64 v[150:151], v[38:39], -v[30:31]
	v_add_f64 v[154:155], v[40:41], -v[32:33]
	v_add_f64 v[82:83], v[140:141], v[44:45]
	v_add_f64 v[140:141], v[44:45], -v[36:37]
	v_add_f64 v[146:147], v[38:39], -v[42:43]
	v_fma_f64 v[22:23], v[22:23], -0.5, v[28:29]
	v_add_f64 v[148:149], v[42:43], -v[38:39]
	v_fma_f64 v[138:139], v[138:139], -0.5, v[26:27]
	v_add_f64 v[42:43], v[42:43], -v[34:35]
	v_add_f64 v[152:153], v[40:41], -v[44:45]
	v_add_f64 v[156:157], v[32:33], -v[36:37]
	v_add_f64 v[24:25], v[24:25], v[34:35]
	v_add_f64 v[160:161], v[30:31], -v[34:35]
	v_fma_f64 v[158:159], v[150:151], s[0:1], v[22:23]
	v_add_f64 v[44:45], v[44:45], -v[40:41]
	v_fma_f64 v[162:163], v[154:155], s[8:9], v[138:139]
	v_add_f64 v[40:41], v[40:41], v[32:33]
	v_add_f64 v[38:39], v[38:39], v[30:31]
	;; [unrolled: 1-line block ×3, first 2 shown]
	v_add_f64 v[34:35], v[34:35], -v[30:31]
	v_add_f64 v[152:153], v[152:153], v[156:157]
	v_fma_f64 v[156:157], v[42:43], s[4:5], v[158:159]
	v_add_f64 v[24:25], v[24:25], v[30:31]
	v_add_f64 v[30:31], v[146:147], v[160:161]
	v_fma_f64 v[146:147], v[140:141], s[6:7], v[162:163]
	v_fma_f64 v[86:87], v[86:87], -0.5, v[2:3]
	v_fma_f64 v[128:129], v[128:129], -0.5, v[4:5]
	;; [unrolled: 1-line block ×3, first 2 shown]
	v_add_f64 v[36:37], v[36:37], -v[32:33]
	v_add_f64 v[32:33], v[82:83], v[32:33]
	v_fma_f64 v[82:83], v[152:153], s[14:15], v[156:157]
	v_fma_f64 v[20:21], v[20:21], -0.5, v[2:3]
	v_fma_f64 v[156:157], v[6:7], -0.5, v[4:5]
	v_fma_f64 v[4:5], v[30:31], s[14:15], v[146:147]
	v_fma_f64 v[2:3], v[134:135], s[8:9], v[86:87]
	v_fma_f64 v[26:27], v[38:39], -0.5, v[26:27]
	v_fma_f64 v[6:7], v[136:137], s[0:1], v[128:129]
	v_add_f64 v[40:41], v[124:125], v[84:85]
	v_add_f64 v[84:85], v[18:19], v[14:15]
	v_fma_f64 v[14:15], v[42:43], s[8:9], v[28:29]
	v_mul_f64 v[38:39], v[82:83], s[6:7]
	v_mul_f64 v[18:19], v[4:5], s[4:5]
	v_fma_f64 v[124:125], v[88:89], s[6:7], v[2:3]
	v_fma_f64 v[146:147], v[140:141], s[0:1], v[26:27]
	;; [unrolled: 1-line block ×3, first 2 shown]
	v_add_f64 v[36:37], v[44:45], v[36:37]
	v_add_f64 v[34:35], v[148:149], v[34:35]
	v_fma_f64 v[14:15], v[150:151], s[4:5], v[14:15]
	v_fma_f64 v[38:39], v[4:5], s[20:21], v[38:39]
	;; [unrolled: 1-line block ×5, first 2 shown]
	v_add_f64 v[2:3], v[8:9], v[24:25]
	v_fma_f64 v[82:83], v[84:85], s[14:15], v[6:7]
	v_add_f64 v[6:7], v[8:9], -v[24:25]
	v_fma_f64 v[24:25], v[36:37], s[14:15], v[14:15]
	v_add_f64 v[4:5], v[16:17], v[32:33]
	v_add_f64 v[8:9], v[16:17], -v[32:33]
	v_add_f64 v[14:15], v[18:19], v[38:39]
	v_fma_f64 v[32:33], v[88:89], s[0:1], v[20:21]
	v_add_f64 v[18:19], v[18:19], -v[38:39]
	v_fma_f64 v[38:39], v[34:35], s[14:15], v[124:125]
	v_fma_f64 v[124:125], v[88:89], s[8:9], v[20:21]
	v_mul_f64 v[146:147], v[24:25], s[8:9]
	v_mul_f64 v[24:25], v[24:25], s[14:15]
	v_fma_f64 v[28:29], v[42:43], s[0:1], v[28:29]
	v_add_f64 v[16:17], v[82:83], v[44:45]
	v_add_f64 v[20:21], v[82:83], -v[44:45]
	v_add_f64 v[44:45], v[126:127], v[142:143]
	v_fma_f64 v[32:33], v[134:135], s[6:7], v[32:33]
	v_fma_f64 v[124:125], v[134:135], s[4:5], v[124:125]
	v_fma_f64 v[22:23], v[150:151], s[8:9], v[22:23]
	v_fma_f64 v[126:127], v[38:39], s[14:15], v[146:147]
	v_fma_f64 v[38:39], v[38:39], s[0:1], v[24:25]
	v_fma_f64 v[24:25], v[140:141], s[8:9], v[26:27]
	v_fma_f64 v[28:29], v[150:151], s[6:7], v[28:29]
	v_fma_f64 v[86:87], v[134:135], s[0:1], v[86:87]
	v_fma_f64 v[26:27], v[44:45], s[14:15], v[32:33]
	v_fma_f64 v[44:45], v[44:45], s[14:15], v[124:125]
	v_fma_f64 v[124:125], v[154:155], s[0:1], v[138:139]
	v_fma_f64 v[22:23], v[42:43], s[6:7], v[22:23]
	v_fma_f64 v[32:33], v[130:131], s[8:9], v[156:157]
	v_fma_f64 v[42:43], v[130:131], s[0:1], v[156:157]
	v_fma_f64 v[24:25], v[154:155], s[4:5], v[24:25]
	v_fma_f64 v[28:29], v[36:37], s[14:15], v[28:29]
	v_fma_f64 v[36:37], v[136:137], s[8:9], v[128:129]
	v_add_f64 v[82:83], v[132:133], v[144:145]
	v_fma_f64 v[124:125], v[140:141], s[4:5], v[124:125]
	v_fma_f64 v[22:23], v[152:153], s[14:15], v[22:23]
	;; [unrolled: 1-line block ×6, first 2 shown]
	v_mul_f64 v[86:87], v[28:29], s[8:9]
	v_mul_f64 v[28:29], v[28:29], s[16:17]
	v_fma_f64 v[36:37], v[130:131], s[6:7], v[36:37]
	v_fma_f64 v[30:31], v[30:31], s[14:15], v[124:125]
	v_mul_f64 v[88:89], v[22:23], s[6:7]
	v_mul_f64 v[22:23], v[22:23], s[18:19]
	v_fma_f64 v[32:33], v[82:83], s[14:15], v[32:33]
	v_fma_f64 v[42:43], v[82:83], s[14:15], v[42:43]
	;; [unrolled: 1-line block ×8, first 2 shown]
	v_add_f64 v[22:23], v[26:27], v[126:127]
	v_add_f64 v[24:25], v[32:33], v[38:39]
	v_add_f64 v[28:29], v[32:33], -v[38:39]
	v_add_f64 v[30:31], v[44:45], v[82:83]
	v_add_f64 v[32:33], v[42:43], v[86:87]
	v_add_f64 v[34:35], v[44:45], -v[82:83]
	v_add_f64 v[38:39], v[124:125], v[88:89]
	v_add_f64 v[40:41], v[84:85], v[128:129]
	v_mul_i32_i24_e32 v82, 10, v96
	v_add_f64 v[36:37], v[42:43], -v[86:87]
	v_lshl_add_u32 v86, v82, 4, 0
	ds_write_b128 v86, v[10:13]
	ds_write_b128 v86, v[50:53] offset:16
	ds_write_b128 v86, v[58:61] offset:32
	;; [unrolled: 1-line block ×9, first 2 shown]
	v_mul_i32_i24_e32 v10, 10, v94
	v_add_f64 v[26:27], v[26:27], -v[126:127]
	v_add_f64 v[44:45], v[84:85], -v[128:129]
	v_lshl_add_u32 v85, v10, 4, 0
	s_movk_i32 s0, 0xcd
	v_add_f64 v[42:43], v[124:125], -v[88:89]
	ds_write_b128 v85, v[2:5]
	ds_write_b128 v85, v[14:17] offset:16
	ds_write_b128 v85, v[22:25] offset:32
	;; [unrolled: 1-line block ×9, first 2 shown]
	v_mul_lo_u16_sdwa v2, v0, s0 dst_sel:DWORD dst_unused:UNUSED_PAD src0_sel:BYTE_0 src1_sel:DWORD
	v_lshrrev_b16_e32 v88, 11, v2
	v_mul_lo_u16_e32 v2, 10, v88
	v_sub_u16_e32 v89, v0, v2
	v_mov_b32_e32 v22, 5
	v_mul_u32_u24_sdwa v2, v89, v22 dst_sel:DWORD dst_unused:UNUSED_PAD src0_sel:BYTE_0 src1_sel:DWORD
	v_lshlrev_b32_e32 v23, 4, v2
	s_waitcnt lgkmcnt(0)
	s_barrier
	global_load_dwordx4 v[2:5], v23, s[12:13]
	global_load_dwordx4 v[6:9], v23, s[12:13] offset:16
	global_load_dwordx4 v[10:13], v23, s[12:13] offset:32
	;; [unrolled: 1-line block ×4, first 2 shown]
	v_mul_lo_u16_sdwa v23, v96, s0 dst_sel:DWORD dst_unused:UNUSED_PAD src0_sel:BYTE_0 src1_sel:DWORD
	v_lshrrev_b16_e32 v127, 11, v23
	v_mul_lo_u16_e32 v23, 10, v127
	v_sub_u16_e32 v128, v96, v23
	v_mul_u32_u24_sdwa v22, v128, v22 dst_sel:DWORD dst_unused:UNUSED_PAD src0_sel:BYTE_0 src1_sel:DWORD
	v_lshlrev_b32_e32 v46, 4, v22
	global_load_dwordx4 v[22:25], v46, s[12:13]
	global_load_dwordx4 v[26:29], v46, s[12:13] offset:16
	global_load_dwordx4 v[30:33], v46, s[12:13] offset:32
	v_lshl_add_u32 v87, v114, 4, 0
	ds_read_b128 v[34:37], v87
	global_load_dwordx4 v[38:41], v46, s[12:13] offset:48
	global_load_dwordx4 v[42:45], v46, s[12:13] offset:64
	s_mov_b32 s0, 0xcccd
	v_mul_u32_u24_sdwa v52, v94, s0 dst_sel:DWORD dst_unused:UNUSED_PAD src0_sel:WORD_0 src1_sel:DWORD
	v_lshrrev_b32_e32 v125, 19, v52
	v_mul_lo_u16_e32 v52, 10, v125
	v_sub_u16_e32 v126, v94, v52
	v_mul_u32_u24_e32 v52, 5, v126
	v_lshlrev_b32_e32 v66, 4, v52
	global_load_dwordx4 v[52:55], v66, s[12:13]
	global_load_dwordx4 v[56:59], v66, s[12:13] offset:16
	v_lshl_add_u32 v84, v112, 4, 0
	ds_read_b128 v[46:49], v84
	global_load_dwordx4 v[137:140], v66, s[12:13] offset:48
	global_load_dwordx4 v[141:144], v66, s[12:13] offset:64
	ds_read_b128 v[60:63], v122 offset:30720
	ds_read_b128 v[133:136], v122 offset:28672
	ds_read_b128 v[70:73], v122 offset:51200
	s_mov_b32 s4, 0xe8584caa
	s_mov_b32 s5, 0xbfebb67a
	;; [unrolled: 1-line block ×3, first 2 shown]
	v_mov_b32_e32 v124, 4
	s_movk_i32 s6, 0xff70
	v_mul_u32_u24_e32 v127, 0x3c0, v127
	v_lshlrev_b32_sdwa v128, v124, v128 dst_sel:DWORD dst_unused:UNUSED_PAD src0_sel:DWORD src1_sel:BYTE_0
	v_add3_u32 v127, 0, v127, v128
	s_waitcnt vmcnt(13) lgkmcnt(4)
	v_mul_f64 v[50:51], v[36:37], v[4:5]
	v_mul_f64 v[4:5], v[34:35], v[4:5]
	v_fma_f64 v[82:83], v[34:35], v[2:3], v[50:51]
	v_fma_f64 v[193:194], v[36:37], v[2:3], -v[4:5]
	global_load_dwordx4 v[2:5], v66, s[12:13] offset:32
	ds_read_b128 v[34:37], v122 offset:40960
	s_waitcnt vmcnt(13) lgkmcnt(4)
	v_mul_f64 v[64:65], v[48:49], v[8:9]
	v_mul_u32_u24_sdwa v50, v116, s0 dst_sel:DWORD dst_unused:UNUSED_PAD src0_sel:WORD_0 src1_sel:DWORD
	v_lshrrev_b32_e32 v131, 19, v50
	v_mul_lo_u16_e32 v50, 10, v131
	v_sub_u16_e32 v132, v116, v50
	v_mul_u32_u24_e32 v50, 5, v132
	v_lshlrev_b32_e32 v74, 4, v50
	global_load_dwordx4 v[145:148], v74, s[12:13]
	global_load_dwordx4 v[149:152], v74, s[12:13] offset:16
	v_mul_f64 v[8:9], v[46:47], v[8:9]
	v_fma_f64 v[195:196], v[46:47], v[6:7], v[64:65]
	s_waitcnt vmcnt(14) lgkmcnt(3)
	v_mul_f64 v[46:47], v[62:63], v[12:13]
	v_mul_f64 v[12:13], v[60:61], v[12:13]
	s_waitcnt vmcnt(13) lgkmcnt(0)
	v_mul_f64 v[50:51], v[36:37], v[16:17]
	v_mul_f64 v[16:17], v[34:35], v[16:17]
	ds_read_b128 v[66:69], v122 offset:43008
	s_waitcnt vmcnt(12)
	v_mul_f64 v[64:65], v[72:73], v[20:21]
	v_fma_f64 v[197:198], v[48:49], v[6:7], -v[8:9]
	ds_read_b128 v[6:9], v122 offset:49152
	v_fma_f64 v[199:200], v[60:61], v[10:11], v[46:47]
	v_fma_f64 v[201:202], v[62:63], v[10:11], -v[12:13]
	global_load_dwordx4 v[10:13], v74, s[12:13] offset:32
	global_load_dwordx4 v[153:156], v74, s[12:13] offset:48
	;; [unrolled: 1-line block ×3, first 2 shown]
	v_fma_f64 v[203:204], v[34:35], v[14:15], v[50:51]
	v_mul_u32_u24_sdwa v34, v118, s0 dst_sel:DWORD dst_unused:UNUSED_PAD src0_sel:WORD_0 src1_sel:DWORD
	v_lshrrev_b32_e32 v129, 19, v34
	v_mul_lo_u16_e32 v34, 10, v129
	v_sub_u16_e32 v130, v118, v34
	v_mul_u32_u24_e32 v34, 5, v130
	v_lshlrev_b32_e32 v50, 4, v34
	global_load_dwordx4 v[161:164], v50, s[12:13]
	ds_read_b128 v[46:49], v122 offset:12288
	v_fma_f64 v[205:206], v[36:37], v[14:15], -v[16:17]
	ds_read_b128 v[14:17], v122 offset:22528
	ds_read_b128 v[165:168], v122
	global_load_dwordx4 v[169:172], v50, s[12:13] offset:16
	global_load_dwordx4 v[177:180], v50, s[12:13] offset:32
	;; [unrolled: 1-line block ×4, first 2 shown]
	v_mul_f64 v[20:21], v[70:71], v[20:21]
	s_waitcnt vmcnt(19) lgkmcnt(2)
	v_mul_f64 v[34:35], v[48:49], v[24:25]
	v_mul_f64 v[24:25], v[46:47], v[24:25]
	v_fma_f64 v[207:208], v[70:71], v[18:19], v[64:65]
	s_waitcnt vmcnt(18) lgkmcnt(1)
	v_mul_f64 v[36:37], v[16:17], v[28:29]
	v_mul_f64 v[28:29], v[14:15], v[28:29]
	s_waitcnt vmcnt(16)
	v_mul_f64 v[50:51], v[68:69], v[40:41]
	v_mul_f64 v[40:41], v[66:67], v[40:41]
	v_fma_f64 v[209:210], v[72:73], v[18:19], -v[20:21]
	ds_read_b128 v[18:21], v122 offset:32768
	v_fma_f64 v[70:71], v[46:47], v[22:23], v[34:35]
	v_fma_f64 v[72:73], v[48:49], v[22:23], -v[24:25]
	ds_read_b128 v[22:25], v122 offset:34816
	ds_read_b128 v[173:176], v122 offset:18432
	s_waitcnt lgkmcnt(2)
	v_mul_f64 v[46:47], v[20:21], v[32:33]
	v_mul_f64 v[48:49], v[18:19], v[32:33]
	ds_read_b128 v[32:35], v122 offset:53248
	ds_read_b128 v[189:192], v122 offset:55296
	v_fma_f64 v[62:63], v[14:15], v[26:27], v[36:37]
	v_fma_f64 v[64:65], v[16:17], v[26:27], -v[28:29]
	ds_read_b128 v[14:17], v122 offset:14336
	s_waitcnt vmcnt(15) lgkmcnt(2)
	v_mul_f64 v[36:37], v[34:35], v[44:45]
	v_fma_f64 v[78:79], v[18:19], v[30:31], v[46:47]
	v_fma_f64 v[74:75], v[20:21], v[30:31], -v[48:49]
	v_mul_f64 v[30:31], v[32:33], v[44:45]
	ds_read_b128 v[18:21], v122 offset:24576
	ds_read_b128 v[26:29], v122 offset:16384
	v_fma_f64 v[68:69], v[68:69], v[38:39], -v[40:41]
	s_waitcnt vmcnt(14) lgkmcnt(2)
	v_mul_f64 v[40:41], v[16:17], v[54:55]
	v_mul_f64 v[44:45], v[14:15], v[54:55]
	s_waitcnt vmcnt(13) lgkmcnt(1)
	v_mul_f64 v[46:47], v[20:21], v[58:59]
	v_fma_f64 v[80:81], v[32:33], v[42:43], v[36:37]
	v_fma_f64 v[66:67], v[66:67], v[38:39], v[50:51]
	v_fma_f64 v[76:77], v[34:35], v[42:43], -v[30:31]
	ds_read_b128 v[30:33], v122 offset:45056
	v_mul_f64 v[34:35], v[18:19], v[58:59]
	v_fma_f64 v[50:51], v[14:15], v[52:53], v[40:41]
	v_fma_f64 v[54:55], v[16:17], v[52:53], -v[44:45]
	ds_read_b128 v[14:17], v122 offset:47104
	v_fma_f64 v[42:43], v[18:19], v[56:57], v[46:47]
	s_waitcnt vmcnt(12) lgkmcnt(1)
	v_mul_f64 v[18:19], v[32:33], v[139:140]
	ds_read_b128 v[36:39], v122 offset:26624
	s_waitcnt vmcnt(10)
	v_mul_f64 v[48:49], v[24:25], v[4:5]
	v_mul_f64 v[4:5], v[22:23], v[4:5]
	v_fma_f64 v[44:45], v[20:21], v[56:57], -v[34:35]
	v_mul_f64 v[20:21], v[189:190], v[143:144]
	s_mov_b32 s0, s4
	v_fma_f64 v[46:47], v[30:31], v[137:138], v[18:19]
	v_fma_f64 v[58:59], v[22:23], v[2:3], v[48:49]
	v_fma_f64 v[52:53], v[24:25], v[2:3], -v[4:5]
	v_mul_f64 v[2:3], v[30:31], v[139:140]
	v_mul_f64 v[4:5], v[191:192], v[143:144]
	s_waitcnt vmcnt(9)
	v_mul_f64 v[18:19], v[26:27], v[147:148]
	s_waitcnt vmcnt(8) lgkmcnt(0)
	v_mul_f64 v[24:25], v[38:39], v[151:152]
	v_mul_f64 v[22:23], v[28:29], v[147:148]
	v_mul_f64 v[34:35], v[36:37], v[151:152]
	v_fma_f64 v[56:57], v[191:192], v[141:142], -v[20:21]
	v_fma_f64 v[48:49], v[32:33], v[137:138], -v[2:3]
	v_fma_f64 v[60:61], v[189:190], v[141:142], v[4:5]
	ds_read_b128 v[2:5], v122 offset:36864
	ds_read_b128 v[137:140], v122 offset:38912
	v_fma_f64 v[32:33], v[28:29], v[145:146], -v[18:19]
	v_fma_f64 v[20:21], v[36:37], v[149:150], v[24:25]
	s_waitcnt vmcnt(6)
	v_mul_f64 v[24:25], v[16:17], v[155:156]
	s_waitcnt lgkmcnt(1)
	v_mul_f64 v[18:19], v[4:5], v[12:13]
	v_mul_f64 v[12:13], v[2:3], v[12:13]
	v_mul_f64 v[28:29], v[14:15], v[155:156]
	ds_read_b128 v[141:144], v122 offset:57344
	v_fma_f64 v[30:31], v[26:27], v[145:146], v[22:23]
	ds_read_b128 v[145:148], v122 offset:59392
	v_fma_f64 v[22:23], v[38:39], v[149:150], -v[34:35]
	v_fma_f64 v[26:27], v[14:15], v[153:154], v[24:25]
	s_waitcnt vmcnt(5) lgkmcnt(1)
	v_mul_f64 v[36:37], v[143:144], v[159:160]
	v_fma_f64 v[40:41], v[2:3], v[10:11], v[18:19]
	v_fma_f64 v[34:35], v[4:5], v[10:11], -v[12:13]
	s_waitcnt vmcnt(4)
	v_mul_f64 v[2:3], v[173:174], v[163:164]
	v_fma_f64 v[28:29], v[16:17], v[153:154], -v[28:29]
	s_waitcnt vmcnt(3)
	v_mul_f64 v[4:5], v[135:136], v[171:172]
	v_mul_f64 v[14:15], v[133:134], v[171:172]
	s_waitcnt vmcnt(2)
	v_mul_f64 v[16:17], v[139:140], v[179:180]
	v_mul_f64 v[149:150], v[141:142], v[159:160]
	v_fma_f64 v[38:39], v[141:142], v[157:158], v[36:37]
	v_mul_f64 v[24:25], v[137:138], v[179:180]
	v_fma_f64 v[12:13], v[175:176], v[161:162], -v[2:3]
	s_waitcnt vmcnt(1)
	v_mul_f64 v[141:142], v[8:9], v[183:184]
	v_fma_f64 v[2:3], v[133:134], v[169:170], v[4:5]
	v_fma_f64 v[4:5], v[135:136], v[169:170], -v[14:15]
	s_waitcnt vmcnt(0) lgkmcnt(0)
	v_mul_f64 v[133:134], v[145:146], v[187:188]
	v_fma_f64 v[18:19], v[137:138], v[177:178], v[16:17]
	v_add_f64 v[135:136], v[165:166], v[195:196]
	v_add_f64 v[137:138], v[201:202], v[209:210]
	v_mul_f64 v[151:152], v[175:176], v[163:164]
	v_fma_f64 v[36:37], v[143:144], v[157:158], -v[149:150]
	v_mul_f64 v[143:144], v[6:7], v[183:184]
	v_mul_f64 v[149:150], v[147:148], v[187:188]
	v_fma_f64 v[14:15], v[139:140], v[177:178], -v[24:25]
	v_fma_f64 v[6:7], v[6:7], v[181:182], v[141:142]
	v_fma_f64 v[24:25], v[147:148], v[185:186], -v[133:134]
	v_add_f64 v[141:142], v[199:200], v[207:208]
	v_add_f64 v[147:148], v[135:136], v[203:204]
	v_fma_f64 v[135:136], v[137:138], -0.5, v[193:194]
	v_add_f64 v[137:138], v[199:200], -v[207:208]
	v_add_f64 v[133:134], v[82:83], v[199:200]
	v_fma_f64 v[10:11], v[173:174], v[161:162], v[151:152]
	v_fma_f64 v[8:9], v[8:9], v[181:182], -v[143:144]
	v_add_f64 v[139:140], v[195:196], v[203:204]
	v_add_f64 v[143:144], v[197:198], v[205:206]
	v_fma_f64 v[82:83], v[141:142], -0.5, v[82:83]
	v_add_f64 v[151:152], v[201:202], -v[209:210]
	v_fma_f64 v[141:142], v[137:138], s[0:1], v[135:136]
	v_fma_f64 v[137:138], v[137:138], s[4:5], v[135:136]
	;; [unrolled: 1-line block ×3, first 2 shown]
	v_add_f64 v[145:146], v[167:168], v[197:198]
	v_add_f64 v[149:150], v[133:134], v[207:208]
	;; [unrolled: 1-line block ×3, first 2 shown]
	v_fma_f64 v[139:140], v[139:140], -0.5, v[165:166]
	v_fma_f64 v[143:144], v[143:144], -0.5, v[167:168]
	v_mul_f64 v[155:156], v[141:142], s[4:5]
	v_fma_f64 v[157:158], v[151:152], s[4:5], v[82:83]
	v_add_f64 v[159:160], v[197:198], -v[205:206]
	v_add_f64 v[161:162], v[195:196], -v[203:204]
	v_fma_f64 v[82:83], v[151:152], s[0:1], v[82:83]
	v_mul_f64 v[151:152], v[137:138], s[4:5]
	v_mul_f64 v[137:138], v[137:138], -0.5
	v_add_f64 v[145:146], v[145:146], v[205:206]
	v_add_f64 v[153:154], v[133:134], v[209:210]
	v_mul_f64 v[141:142], v[141:142], 0.5
	v_fma_f64 v[155:156], v[157:158], 0.5, v[155:156]
	v_fma_f64 v[163:164], v[159:160], s[4:5], v[139:140]
	v_fma_f64 v[165:166], v[161:162], s[0:1], v[143:144]
	;; [unrolled: 1-line block ×3, first 2 shown]
	v_fma_f64 v[167:168], v[82:83], -0.5, v[151:152]
	v_fma_f64 v[82:83], v[82:83], s[0:1], v[137:138]
	v_add_f64 v[133:134], v[147:148], v[149:150]
	v_add_f64 v[135:136], v[145:146], v[153:154]
	v_fma_f64 v[157:158], v[157:158], s[0:1], v[141:142]
	v_fma_f64 v[159:160], v[159:160], s[0:1], v[139:140]
	v_add_f64 v[139:140], v[145:146], -v[153:154]
	v_add_f64 v[141:142], v[163:164], v[155:156]
	v_add_f64 v[145:146], v[163:164], -v[155:156]
	v_add_f64 v[151:152], v[161:162], v[82:83]
	v_add_f64 v[155:156], v[161:162], -v[82:83]
	v_mul_u32_u24_e32 v82, 0x3c0, v88
	v_lshlrev_b32_sdwa v83, v124, v89 dst_sel:DWORD dst_unused:UNUSED_PAD src0_sel:DWORD src1_sel:BYTE_0
	v_add3_u32 v173, 0, v82, v83
	v_mad_i32_i24 v89, v96, s6, v86
	v_add_f64 v[137:138], v[147:148], -v[149:150]
	v_add_f64 v[143:144], v[165:166], v[157:158]
	v_add_f64 v[147:148], v[165:166], -v[157:158]
	v_add_f64 v[149:150], v[159:160], v[167:168]
	v_add_f64 v[153:154], v[159:160], -v[167:168]
	v_mad_i32_i24 v88, v94, s6, v85
	v_lshl_add_u32 v83, v116, 4, 0
	v_lshl_add_u32 v82, v118, 4, 0
	ds_read_b128 v[157:160], v89
	ds_read_b128 v[161:164], v88
	;; [unrolled: 1-line block ×4, first 2 shown]
	s_waitcnt lgkmcnt(0)
	s_barrier
	ds_write_b128 v173, v[133:136]
	v_add_f64 v[133:134], v[74:75], v[76:77]
	ds_write_b128 v173, v[141:144] offset:160
	ds_write_b128 v173, v[149:152] offset:320
	;; [unrolled: 1-line block ×5, first 2 shown]
	v_add_f64 v[137:138], v[70:71], v[78:79]
	v_add_f64 v[139:140], v[78:79], v[80:81]
	v_add_f64 v[78:79], v[78:79], -v[80:81]
	v_add_f64 v[135:136], v[157:158], v[62:63]
	v_add_f64 v[141:142], v[62:63], v[66:67]
	;; [unrolled: 1-line block ×3, first 2 shown]
	v_fma_f64 v[133:134], v[133:134], -0.5, v[72:73]
	v_add_f64 v[145:146], v[159:160], v[64:65]
	v_add_f64 v[72:73], v[72:73], v[74:75]
	;; [unrolled: 1-line block ×3, first 2 shown]
	v_fma_f64 v[137:138], v[139:140], -0.5, v[70:71]
	v_add_f64 v[74:75], v[74:75], -v[76:77]
	v_add_f64 v[135:136], v[135:136], v[66:67]
	v_fma_f64 v[141:142], v[141:142], -0.5, v[157:158]
	v_fma_f64 v[139:140], v[78:79], s[0:1], v[133:134]
	v_fma_f64 v[78:79], v[78:79], s[4:5], v[133:134]
	v_fma_f64 v[143:144], v[143:144], -0.5, v[159:160]
	v_add_f64 v[145:146], v[145:146], v[68:69]
	v_add_f64 v[76:77], v[72:73], v[76:77]
	v_fma_f64 v[147:148], v[74:75], s[4:5], v[137:138]
	v_add_f64 v[64:65], v[64:65], -v[68:69]
	v_add_f64 v[62:63], v[62:63], -v[66:67]
	v_mul_f64 v[133:134], v[139:140], s[4:5]
	v_mul_f64 v[139:140], v[139:140], 0.5
	v_fma_f64 v[66:67], v[74:75], s[0:1], v[137:138]
	v_mul_f64 v[68:69], v[78:79], s[4:5]
	v_mul_f64 v[74:75], v[78:79], -0.5
	v_add_f64 v[70:71], v[135:136], v[80:81]
	v_add_f64 v[72:73], v[145:146], v[76:77]
	v_fma_f64 v[137:138], v[64:65], s[4:5], v[141:142]
	v_fma_f64 v[78:79], v[147:148], 0.5, v[133:134]
	v_fma_f64 v[133:134], v[147:148], s[0:1], v[139:140]
	v_fma_f64 v[139:140], v[62:63], s[0:1], v[143:144]
	v_fma_f64 v[141:142], v[64:65], s[0:1], v[141:142]
	v_fma_f64 v[143:144], v[62:63], s[4:5], v[143:144]
	v_fma_f64 v[147:148], v[66:67], -0.5, v[68:69]
	v_fma_f64 v[149:150], v[66:67], s[0:1], v[74:75]
	ds_write_b128 v127, v[70:73]
	v_add_f64 v[66:67], v[137:138], v[78:79]
	v_add_f64 v[70:71], v[52:53], v[56:57]
	;; [unrolled: 1-line block ×3, first 2 shown]
	v_add_f64 v[62:63], v[135:136], -v[80:81]
	v_add_f64 v[74:75], v[137:138], -v[78:79]
	v_add_f64 v[78:79], v[141:142], v[147:148]
	v_add_f64 v[80:81], v[143:144], v[149:150]
	v_add_f64 v[64:65], v[145:146], -v[76:77]
	v_add_f64 v[76:77], v[139:140], -v[133:134]
	;; [unrolled: 1-line block ×4, first 2 shown]
	ds_write_b128 v127, v[66:69] offset:160
	ds_write_b128 v127, v[78:81] offset:320
	;; [unrolled: 1-line block ×5, first 2 shown]
	v_add_f64 v[64:65], v[50:51], v[58:59]
	v_fma_f64 v[66:67], v[70:71], -0.5, v[54:55]
	v_add_f64 v[68:69], v[58:59], v[60:61]
	v_add_f64 v[58:59], v[58:59], -v[60:61]
	v_add_f64 v[54:55], v[54:55], v[52:53]
	v_add_f64 v[70:71], v[42:43], v[46:47]
	v_add_f64 v[76:77], v[52:53], -v[56:57]
	v_add_f64 v[62:63], v[161:162], v[42:43]
	v_add_f64 v[60:61], v[64:65], v[60:61]
	;; [unrolled: 1-line block ×3, first 2 shown]
	v_fma_f64 v[64:65], v[68:69], -0.5, v[50:51]
	v_fma_f64 v[68:69], v[58:59], s[0:1], v[66:67]
	v_add_f64 v[74:75], v[163:164], v[44:45]
	v_add_f64 v[54:55], v[54:55], v[56:57]
	v_fma_f64 v[56:57], v[58:59], s[4:5], v[66:67]
	v_fma_f64 v[70:71], v[70:71], -0.5, v[161:162]
	v_add_f64 v[44:45], v[44:45], -v[48:49]
	v_add_f64 v[62:63], v[62:63], v[46:47]
	v_fma_f64 v[66:67], v[76:77], s[4:5], v[64:65]
	v_mul_f64 v[58:59], v[68:69], s[4:5]
	v_mul_f64 v[68:69], v[68:69], 0.5
	v_fma_f64 v[72:73], v[72:73], -0.5, v[163:164]
	v_add_f64 v[74:75], v[74:75], v[48:49]
	v_add_f64 v[42:43], v[42:43], -v[46:47]
	v_fma_f64 v[46:47], v[76:77], s[0:1], v[64:65]
	v_mul_f64 v[48:49], v[56:57], s[4:5]
	v_mul_f64 v[56:57], v[56:57], -0.5
	v_fma_f64 v[58:59], v[66:67], 0.5, v[58:59]
	v_fma_f64 v[64:65], v[66:67], s[0:1], v[68:69]
	v_fma_f64 v[66:67], v[44:45], s[4:5], v[70:71]
	v_add_f64 v[50:51], v[62:63], v[60:61]
	v_add_f64 v[52:53], v[74:75], v[54:55]
	v_fma_f64 v[68:69], v[42:43], s[0:1], v[72:73]
	v_fma_f64 v[70:71], v[44:45], s[0:1], v[70:71]
	;; [unrolled: 1-line block ×3, first 2 shown]
	v_fma_f64 v[76:77], v[46:47], -0.5, v[48:49]
	v_fma_f64 v[78:79], v[46:47], s[0:1], v[56:57]
	v_add_f64 v[44:45], v[74:75], -v[54:55]
	v_add_f64 v[46:47], v[66:67], v[58:59]
	v_add_f64 v[54:55], v[66:67], -v[58:59]
	v_mul_u32_u24_e32 v66, 0x3c0, v125
	v_lshlrev_b32_e32 v67, 4, v126
	v_add3_u32 v66, 0, v66, v67
	v_add_f64 v[48:49], v[68:69], v[64:65]
	ds_write_b128 v66, v[50:53]
	v_add_f64 v[50:51], v[34:35], v[36:37]
	v_add_f64 v[42:43], v[62:63], -v[60:61]
	v_add_f64 v[58:59], v[70:71], v[76:77]
	v_add_f64 v[60:61], v[72:73], v[78:79]
	v_add_f64 v[56:57], v[68:69], -v[64:65]
	v_add_f64 v[62:63], v[70:71], -v[76:77]
	;; [unrolled: 1-line block ×3, first 2 shown]
	ds_write_b128 v66, v[46:49] offset:160
	ds_write_b128 v66, v[58:61] offset:320
	ds_write_b128 v66, v[42:45] offset:480
	ds_write_b128 v66, v[54:57] offset:640
	ds_write_b128 v66, v[62:65] offset:800
	v_add_f64 v[44:45], v[30:31], v[40:41]
	v_fma_f64 v[46:47], v[50:51], -0.5, v[32:33]
	v_add_f64 v[48:49], v[40:41], v[38:39]
	v_add_f64 v[40:41], v[40:41], -v[38:39]
	v_add_f64 v[50:51], v[20:21], v[26:27]
	v_add_f64 v[32:33], v[32:33], v[34:35]
	v_add_f64 v[34:35], v[34:35], -v[36:37]
	v_add_f64 v[42:43], v[165:166], v[20:21]
	v_add_f64 v[38:39], v[44:45], v[38:39]
	;; [unrolled: 1-line block ×3, first 2 shown]
	v_fma_f64 v[44:45], v[48:49], -0.5, v[30:31]
	v_fma_f64 v[48:49], v[40:41], s[0:1], v[46:47]
	v_add_f64 v[54:55], v[167:168], v[22:23]
	v_fma_f64 v[40:41], v[40:41], s[4:5], v[46:47]
	v_fma_f64 v[50:51], v[50:51], -0.5, v[165:166]
	v_add_f64 v[22:23], v[22:23], -v[28:29]
	v_add_f64 v[42:43], v[42:43], v[26:27]
	v_fma_f64 v[52:53], v[52:53], -0.5, v[167:168]
	v_fma_f64 v[56:57], v[34:35], s[4:5], v[44:45]
	v_mul_f64 v[46:47], v[48:49], s[4:5]
	v_add_f64 v[54:55], v[54:55], v[28:29]
	v_add_f64 v[36:37], v[32:33], v[36:37]
	v_mul_f64 v[48:49], v[48:49], 0.5
	v_add_f64 v[20:21], v[20:21], -v[26:27]
	v_fma_f64 v[26:27], v[34:35], s[0:1], v[44:45]
	v_mul_f64 v[28:29], v[40:41], s[4:5]
	v_mul_f64 v[34:35], v[40:41], -0.5
	v_fma_f64 v[40:41], v[56:57], 0.5, v[46:47]
	v_fma_f64 v[46:47], v[22:23], s[4:5], v[50:51]
	v_add_f64 v[30:31], v[42:43], v[38:39]
	v_add_f64 v[32:33], v[54:55], v[36:37]
	v_fma_f64 v[44:45], v[56:57], s[0:1], v[48:49]
	v_fma_f64 v[48:49], v[20:21], s[0:1], v[52:53]
	;; [unrolled: 1-line block ×4, first 2 shown]
	v_fma_f64 v[56:57], v[26:27], -0.5, v[28:29]
	v_fma_f64 v[58:59], v[26:27], s[0:1], v[34:35]
	v_add_f64 v[26:27], v[46:47], v[40:41]
	v_add_f64 v[34:35], v[46:47], -v[40:41]
	v_mul_u32_u24_e32 v46, 0x3c0, v131
	v_lshlrev_b32_e32 v47, 4, v132
	v_add3_u32 v46, 0, v46, v47
	v_add_f64 v[28:29], v[48:49], v[44:45]
	ds_write_b128 v46, v[30:33]
	v_add_f64 v[30:31], v[14:15], v[24:25]
	v_add_f64 v[20:21], v[42:43], -v[38:39]
	v_add_f64 v[38:39], v[50:51], v[56:57]
	v_add_f64 v[40:41], v[52:53], v[58:59]
	v_add_f64 v[22:23], v[54:55], -v[36:37]
	v_add_f64 v[36:37], v[48:49], -v[44:45]
	;; [unrolled: 1-line block ×4, first 2 shown]
	ds_write_b128 v46, v[26:29] offset:160
	ds_write_b128 v46, v[38:41] offset:320
	;; [unrolled: 1-line block ×5, first 2 shown]
	v_add_f64 v[22:23], v[10:11], v[18:19]
	v_fma_f64 v[26:27], v[30:31], -0.5, v[12:13]
	v_add_f64 v[28:29], v[18:19], v[16:17]
	v_add_f64 v[18:19], v[18:19], -v[16:17]
	v_add_f64 v[30:31], v[2:3], v[6:7]
	v_add_f64 v[32:33], v[4:5], v[8:9]
	;; [unrolled: 1-line block ×3, first 2 shown]
	v_add_f64 v[14:15], v[14:15], -v[24:25]
	v_add_f64 v[16:17], v[22:23], v[16:17]
	v_add_f64 v[20:21], v[169:170], v[2:3]
	v_fma_f64 v[22:23], v[28:29], -0.5, v[10:11]
	v_fma_f64 v[28:29], v[18:19], s[0:1], v[26:27]
	v_add_f64 v[34:35], v[171:172], v[4:5]
	v_fma_f64 v[18:19], v[18:19], s[4:5], v[26:27]
	v_fma_f64 v[30:31], v[30:31], -0.5, v[169:170]
	v_fma_f64 v[32:33], v[32:33], -0.5, v[171:172]
	v_add_f64 v[4:5], v[4:5], -v[8:9]
	v_add_f64 v[2:3], v[2:3], -v[6:7]
	v_fma_f64 v[36:37], v[14:15], s[4:5], v[22:23]
	v_mul_f64 v[26:27], v[28:29], s[4:5]
	v_mul_f64 v[28:29], v[28:29], 0.5
	v_add_f64 v[20:21], v[20:21], v[6:7]
	v_add_f64 v[34:35], v[34:35], v[8:9]
	v_fma_f64 v[6:7], v[14:15], s[0:1], v[22:23]
	v_mul_f64 v[8:9], v[18:19], s[4:5]
	v_mul_f64 v[14:15], v[18:19], -0.5
	v_add_f64 v[24:25], v[12:13], v[24:25]
	v_fma_f64 v[18:19], v[36:37], 0.5, v[26:27]
	v_fma_f64 v[22:23], v[36:37], s[0:1], v[28:29]
	v_fma_f64 v[26:27], v[4:5], s[4:5], v[30:31]
	;; [unrolled: 1-line block ×5, first 2 shown]
	v_fma_f64 v[36:37], v[6:7], -0.5, v[8:9]
	v_fma_f64 v[38:39], v[6:7], s[0:1], v[14:15]
	v_add_f64 v[10:11], v[20:21], v[16:17]
	v_add_f64 v[12:13], v[34:35], v[24:25]
	;; [unrolled: 1-line block ×4, first 2 shown]
	v_add_f64 v[2:3], v[20:21], -v[16:17]
	v_add_f64 v[14:15], v[26:27], -v[18:19]
	v_add_f64 v[18:19], v[30:31], v[36:37]
	v_add_f64 v[20:21], v[32:33], v[38:39]
	v_add_f64 v[4:5], v[34:35], -v[24:25]
	v_add_f64 v[16:17], v[28:29], -v[22:23]
	;; [unrolled: 1-line block ×4, first 2 shown]
	v_mul_u32_u24_e32 v26, 0x3c0, v129
	v_lshlrev_b32_e32 v27, 4, v130
	v_add3_u32 v26, 0, v26, v27
	s_movk_i32 s0, 0x89
	ds_write_b128 v26, v[10:13]
	ds_write_b128 v26, v[6:9] offset:160
	ds_write_b128 v26, v[18:21] offset:320
	;; [unrolled: 1-line block ×5, first 2 shown]
	v_mul_lo_u16_sdwa v2, v0, s0 dst_sel:DWORD dst_unused:UNUSED_PAD src0_sel:BYTE_0 src1_sel:DWORD
	v_lshrrev_b16_e32 v32, 13, v2
	v_mul_lo_u16_e32 v2, 60, v32
	v_sub_u16_e32 v2, v0, v2
	v_lshlrev_b32_sdwa v33, v124, v2 dst_sel:DWORD dst_unused:UNUSED_PAD src0_sel:DWORD src1_sel:BYTE_0
	v_mul_lo_u16_sdwa v2, v96, s0 dst_sel:DWORD dst_unused:UNUSED_PAD src0_sel:BYTE_0 src1_sel:DWORD
	v_lshrrev_b16_e32 v4, 13, v2
	v_mul_lo_u16_e32 v3, 60, v4
	s_mov_b32 s0, 0x8889
	v_sub_u16_e32 v3, v96, v3
	v_mul_u32_u24_sdwa v5, v94, s0 dst_sel:DWORD dst_unused:UNUSED_PAD src0_sel:WORD_0 src1_sel:DWORD
	s_waitcnt lgkmcnt(0)
	s_barrier
	v_lshlrev_b32_sdwa v6, v124, v3 dst_sel:DWORD dst_unused:UNUSED_PAD src0_sel:DWORD src1_sel:BYTE_0
	global_load_dwordx4 v[41:44], v33, s[12:13] offset:800
	global_load_dwordx4 v[45:48], v6, s[12:13] offset:800
	v_lshrrev_b32_e32 v20, 21, v5
	v_mul_lo_u16_e32 v3, 60, v20
	v_mul_u32_u24_sdwa v16, v116, s0 dst_sel:DWORD dst_unused:UNUSED_PAD src0_sel:WORD_0 src1_sel:DWORD
	v_sub_u16_e32 v3, v94, v3
	v_lshrrev_b32_e32 v22, 21, v16
	v_lshlrev_b32_e32 v21, 4, v3
	v_mul_lo_u16_e32 v3, 60, v22
	v_sub_u16_e32 v3, v116, v3
	v_lshlrev_b32_e32 v3, 4, v3
	global_load_dwordx4 v[54:57], v21, s[12:13] offset:800
	global_load_dwordx4 v[58:61], v3, s[12:13] offset:800
	v_mul_u32_u24_sdwa v14, v118, s0 dst_sel:DWORD dst_unused:UNUSED_PAD src0_sel:WORD_0 src1_sel:DWORD
	v_lshrrev_b32_e32 v23, 21, v14
	v_mul_lo_u16_e32 v7, 60, v23
	v_mul_u32_u24_sdwa v15, v114, s0 dst_sel:DWORD dst_unused:UNUSED_PAD src0_sel:WORD_0 src1_sel:DWORD
	v_sub_u16_e32 v7, v118, v7
	v_lshrrev_b32_e32 v25, 21, v15
	v_lshlrev_b32_e32 v24, 4, v7
	v_mul_lo_u16_e32 v7, 60, v25
	v_mul_u32_u24_sdwa v13, v120, s0 dst_sel:DWORD dst_unused:UNUSED_PAD src0_sel:WORD_0 src1_sel:DWORD
	v_sub_u16_e32 v7, v114, v7
	v_lshrrev_b32_e32 v27, 21, v13
	v_mul_u32_u24_sdwa v8, v104, s0 dst_sel:DWORD dst_unused:UNUSED_PAD src0_sel:WORD_0 src1_sel:DWORD
	v_lshlrev_b32_e32 v26, 4, v7
	v_mul_lo_u16_e32 v7, 60, v27
	v_lshrrev_b32_e32 v28, 21, v8
	v_sub_u16_e32 v7, v120, v7
	v_mul_lo_u16_e32 v9, 60, v28
	global_load_dwordx4 v[62:65], v24, s[12:13] offset:800
	global_load_dwordx4 v[66:69], v26, s[12:13] offset:800
	v_lshlrev_b32_e32 v7, 4, v7
	v_sub_u16_e32 v9, v104, v9
	v_lshlrev_b32_e32 v29, 4, v9
	global_load_dwordx4 v[70:73], v7, s[12:13] offset:800
	global_load_dwordx4 v[74:77], v29, s[12:13] offset:800
	v_mul_u32_u24_sdwa v17, v100, s0 dst_sel:DWORD dst_unused:UNUSED_PAD src0_sel:WORD_0 src1_sel:DWORD
	v_lshrrev_b32_e32 v30, 21, v17
	v_mul_lo_u16_e32 v9, 60, v30
	v_mul_u32_u24_sdwa v19, v98, s0 dst_sel:DWORD dst_unused:UNUSED_PAD src0_sel:WORD_0 src1_sel:DWORD
	v_sub_u16_e32 v9, v100, v9
	v_lshrrev_b32_e32 v37, 21, v19
	v_lshlrev_b32_e32 v31, 4, v9
	v_mul_lo_u16_e32 v9, 60, v37
	v_mul_u32_u24_sdwa v18, v112, s0 dst_sel:DWORD dst_unused:UNUSED_PAD src0_sel:WORD_0 src1_sel:DWORD
	v_sub_u16_e32 v9, v98, v9
	v_lshrrev_b32_e32 v38, 21, v18
	v_lshlrev_b32_e32 v34, 4, v9
	v_mul_lo_u16_e32 v9, 60, v38
	v_sub_u16_e32 v9, v112, v9
	v_lshlrev_b32_e32 v39, 4, v9
	v_mul_u32_u24_sdwa v9, v110, s0 dst_sel:DWORD dst_unused:UNUSED_PAD src0_sel:WORD_0 src1_sel:DWORD
	global_load_dwordx4 v[78:81], v31, s[12:13] offset:800
	global_load_dwordx4 v[125:128], v34, s[12:13] offset:800
	v_lshrrev_b32_e32 v40, 21, v9
	v_mul_lo_u16_e32 v10, 60, v40
	v_sub_u16_e32 v10, v110, v10
	v_lshlrev_b32_e32 v49, 4, v10
	global_load_dwordx4 v[129:132], v39, s[12:13] offset:800
	global_load_dwordx4 v[133:136], v49, s[12:13] offset:800
	v_mul_u32_u24_sdwa v12, v108, s0 dst_sel:DWORD dst_unused:UNUSED_PAD src0_sel:WORD_0 src1_sel:DWORD
	v_lshrrev_b32_e32 v35, 21, v12
	v_mul_lo_u16_e32 v10, 60, v35
	v_mul_u32_u24_sdwa v11, v102, s0 dst_sel:DWORD dst_unused:UNUSED_PAD src0_sel:WORD_0 src1_sel:DWORD
	v_sub_u16_e32 v10, v108, v10
	v_lshrrev_b32_e32 v50, 21, v11
	v_lshlrev_b32_e32 v36, 4, v10
	v_mul_lo_u16_e32 v10, 60, v50
	v_sub_u16_e32 v10, v102, v10
	v_lshlrev_b32_e32 v51, 4, v10
	v_mul_u32_u24_sdwa v10, v106, s0 dst_sel:DWORD dst_unused:UNUSED_PAD src0_sel:WORD_0 src1_sel:DWORD
	v_lshrrev_b32_e32 v52, 21, v10
	v_mul_lo_u16_e32 v53, 60, v52
	v_sub_u16_e32 v53, v106, v53
	v_lshlrev_b32_e32 v53, 4, v53
	global_load_dwordx4 v[137:140], v36, s[12:13] offset:800
	global_load_dwordx4 v[141:144], v51, s[12:13] offset:800
	;; [unrolled: 1-line block ×3, first 2 shown]
	ds_read_b128 v[149:152], v122 offset:30720
	ds_read_b128 v[153:156], v122 offset:32768
	ds_read_b128 v[157:160], v122
	ds_read_b128 v[161:164], v122 offset:34816
	ds_read_b128 v[165:168], v122 offset:36864
	;; [unrolled: 1-line block ×3, first 2 shown]
	v_mul_u32_u24_e32 v32, 0x780, v32
	v_add3_u32 v32, 0, v32, v33
	v_mul_u32_u24_e32 v4, 0x780, v4
	s_waitcnt vmcnt(14) lgkmcnt(5)
	v_mul_f64 v[173:174], v[151:152], v[43:44]
	v_mul_f64 v[43:44], v[149:150], v[43:44]
	s_waitcnt vmcnt(13) lgkmcnt(4)
	v_mul_f64 v[175:176], v[155:156], v[47:48]
	v_mul_f64 v[47:48], v[153:154], v[47:48]
	v_add3_u32 v4, 0, v4, v6
	s_movk_i32 s0, 0x78
	v_cmp_gt_u32_e64 s[0:1], s0, v0
	v_lshrrev_b16_e32 v6, 14, v2
	v_fma_f64 v[149:150], v[149:150], v[41:42], v[173:174]
	v_fma_f64 v[151:152], v[151:152], v[41:42], -v[43:44]
	ds_read_b128 v[41:44], v122 offset:40960
	s_waitcnt vmcnt(12) lgkmcnt(3)
	v_mul_f64 v[177:178], v[163:164], v[56:57]
	v_mul_f64 v[56:57], v[161:162], v[56:57]
	s_waitcnt vmcnt(11) lgkmcnt(2)
	v_mul_f64 v[179:180], v[167:168], v[60:61]
	v_fma_f64 v[153:154], v[153:154], v[45:46], v[175:176]
	v_fma_f64 v[155:156], v[155:156], v[45:46], -v[47:48]
	ds_read_b128 v[45:48], v122 offset:43008
	v_mul_f64 v[60:61], v[165:166], v[60:61]
	v_mul_lo_u16_e32 v2, 0x78, v6
	v_fma_f64 v[173:174], v[161:162], v[54:55], v[177:178]
	v_fma_f64 v[175:176], v[163:164], v[54:55], -v[56:57]
	ds_read_b128 v[54:57], v122 offset:45056
	v_fma_f64 v[177:178], v[165:166], v[58:59], v[179:180]
	v_sub_u16_e32 v2, v96, v2
	s_movk_i32 s4, 0x1000
	v_fma_f64 v[179:180], v[167:168], v[58:59], -v[60:61]
	ds_read_b128 v[58:61], v122 offset:47104
	s_movk_i32 s5, 0x1e0
	s_waitcnt vmcnt(10) lgkmcnt(4)
	v_mul_f64 v[161:162], v[171:172], v[64:65]
	s_waitcnt vmcnt(9) lgkmcnt(3)
	v_mul_f64 v[163:164], v[43:44], v[68:69]
	v_mul_f64 v[68:69], v[41:42], v[68:69]
	;; [unrolled: 1-line block ×3, first 2 shown]
	s_waitcnt vmcnt(8) lgkmcnt(2)
	v_mul_f64 v[165:166], v[47:48], v[72:73]
	v_mul_f64 v[72:73], v[45:46], v[72:73]
	s_waitcnt vmcnt(7) lgkmcnt(1)
	v_mul_f64 v[167:168], v[56:57], v[76:77]
	v_mul_f64 v[76:77], v[54:55], v[76:77]
	v_fma_f64 v[169:170], v[169:170], v[62:63], v[161:162]
	v_fma_f64 v[181:182], v[41:42], v[66:67], v[163:164]
	v_fma_f64 v[183:184], v[43:44], v[66:67], -v[68:69]
	ds_read_b128 v[41:44], v122 offset:49152
	v_fma_f64 v[185:186], v[45:46], v[70:71], v[165:166]
	v_fma_f64 v[187:188], v[47:48], v[70:71], -v[72:73]
	ds_read_b128 v[45:48], v122 offset:51200
	;; [unrolled: 3-line block ×3, first 2 shown]
	v_fma_f64 v[171:172], v[171:172], v[62:63], -v[64:65]
	ds_read_b128 v[62:65], v122 offset:55296
	s_add_u32 s6, s12, 0xef60
	s_waitcnt vmcnt(6) lgkmcnt(4)
	v_mul_f64 v[66:67], v[60:61], v[80:81]
	s_waitcnt vmcnt(5) lgkmcnt(3)
	v_mul_f64 v[70:71], v[43:44], v[127:128]
	v_mul_f64 v[72:73], v[41:42], v[127:128]
	;; [unrolled: 1-line block ×3, first 2 shown]
	s_addc_u32 s7, s13, 0
	s_waitcnt vmcnt(4) lgkmcnt(2)
	v_mul_f64 v[74:75], v[47:48], v[131:132]
	v_mul_f64 v[76:77], v[45:46], v[131:132]
	s_waitcnt vmcnt(3) lgkmcnt(1)
	v_mul_f64 v[80:81], v[56:57], v[135:136]
	v_fma_f64 v[193:194], v[58:59], v[78:79], v[66:67]
	v_mul_f64 v[58:59], v[54:55], v[135:136]
	v_fma_f64 v[197:198], v[41:42], v[125:126], v[70:71]
	v_fma_f64 v[199:200], v[43:44], v[125:126], -v[72:73]
	ds_read_b128 v[41:44], v122 offset:57344
	v_fma_f64 v[201:202], v[45:46], v[129:130], v[74:75]
	v_fma_f64 v[203:204], v[47:48], v[129:130], -v[76:77]
	ds_read_b128 v[45:48], v122 offset:59392
	v_fma_f64 v[195:196], v[60:61], v[78:79], -v[68:69]
	v_fma_f64 v[207:208], v[56:57], v[133:134], -v[58:59]
	v_fma_f64 v[205:206], v[54:55], v[133:134], v[80:81]
	v_add_f64 v[54:55], v[157:158], -v[149:150]
	v_add_f64 v[56:57], v[159:160], -v[151:152]
	s_waitcnt vmcnt(2) lgkmcnt(2)
	v_mul_f64 v[58:59], v[64:65], v[139:140]
	v_mul_f64 v[60:61], v[62:63], v[139:140]
	s_waitcnt vmcnt(1) lgkmcnt(1)
	v_mul_f64 v[66:67], v[43:44], v[143:144]
	v_mul_f64 v[68:69], v[41:42], v[143:144]
	s_waitcnt vmcnt(0) lgkmcnt(0)
	v_mul_f64 v[70:71], v[47:48], v[147:148]
	v_mul_f64 v[72:73], v[45:46], v[147:148]
	v_fma_f64 v[209:210], v[62:63], v[137:138], v[58:59]
	v_fma_f64 v[211:212], v[64:65], v[137:138], -v[60:61]
	v_fma_f64 v[213:214], v[41:42], v[141:142], v[66:67]
	v_fma_f64 v[215:216], v[43:44], v[141:142], -v[68:69]
	;; [unrolled: 2-line block ×3, first 2 shown]
	v_lshl_add_u32 v48, v120, 4, 0
	v_lshl_add_u32 v47, v104, 4, 0
	;; [unrolled: 1-line block ×6, first 2 shown]
	ds_read_b128 v[62:65], v89
	ds_read_b128 v[66:69], v88
	;; [unrolled: 1-line block ×12, first 2 shown]
	s_waitcnt lgkmcnt(11)
	v_add_f64 v[153:154], v[62:63], -v[153:154]
	v_add_f64 v[155:156], v[64:65], -v[155:156]
	v_fma_f64 v[58:59], v[157:158], 2.0, -v[54:55]
	v_fma_f64 v[60:61], v[159:160], 2.0, -v[56:57]
	s_waitcnt lgkmcnt(10)
	v_add_f64 v[165:166], v[66:67], -v[173:174]
	v_add_f64 v[167:168], v[68:69], -v[175:176]
	v_lshl_add_u32 v42, v102, 4, 0
	v_lshl_add_u32 v41, v106, 4, 0
	v_fma_f64 v[62:63], v[62:63], 2.0, -v[153:154]
	v_fma_f64 v[64:65], v[64:65], 2.0, -v[155:156]
	ds_read_b128 v[157:160], v42
	ds_read_b128 v[161:164], v41
	s_waitcnt lgkmcnt(0)
	s_barrier
	ds_write_b128 v32, v[58:61]
	ds_write_b128 v32, v[54:57] offset:960
	v_fma_f64 v[54:55], v[66:67], 2.0, -v[165:166]
	v_fma_f64 v[56:57], v[68:69], 2.0, -v[167:168]
	v_add_f64 v[58:59], v[70:71], -v[177:178]
	v_add_f64 v[60:61], v[72:73], -v[179:180]
	ds_write_b128 v4, v[62:65]
	ds_write_b128 v4, v[153:156] offset:960
	v_mul_u32_u24_e32 v4, 0x780, v20
	v_add3_u32 v4, 0, v4, v21
	v_add_f64 v[66:67], v[137:138], -v[181:182]
	ds_write_b128 v4, v[54:57]
	v_add_f64 v[54:55], v[74:75], -v[169:170]
	v_add_f64 v[56:57], v[76:77], -v[171:172]
	v_fma_f64 v[62:63], v[70:71], 2.0, -v[58:59]
	v_fma_f64 v[64:65], v[72:73], 2.0, -v[60:61]
	v_add_f64 v[68:69], v[139:140], -v[183:184]
	ds_write_b128 v4, v[165:168] offset:960
	v_mul_u32_u24_e32 v4, 0x780, v22
	v_add3_u32 v3, 0, v4, v3
	v_fma_f64 v[70:71], v[74:75], 2.0, -v[54:55]
	v_fma_f64 v[72:73], v[76:77], 2.0, -v[56:57]
	ds_write_b128 v3, v[62:65]
	ds_write_b128 v3, v[58:61] offset:960
	v_mul_u32_u24_e32 v3, 0x780, v23
	v_fma_f64 v[20:21], v[137:138], 2.0, -v[66:67]
	v_fma_f64 v[22:23], v[139:140], 2.0, -v[68:69]
	v_add_f64 v[58:59], v[78:79], -v[185:186]
	v_add_f64 v[60:61], v[80:81], -v[187:188]
	v_add3_u32 v3, 0, v3, v24
	ds_write_b128 v3, v[70:73]
	ds_write_b128 v3, v[54:57] offset:960
	v_mul_u32_u24_e32 v3, 0x780, v25
	v_add3_u32 v3, 0, v3, v26
	ds_write_b128 v3, v[20:23]
	v_add_f64 v[20:21], v[125:126], -v[189:190]
	v_add_f64 v[22:23], v[127:128], -v[191:192]
	v_fma_f64 v[54:55], v[78:79], 2.0, -v[58:59]
	v_fma_f64 v[56:57], v[80:81], 2.0, -v[60:61]
	ds_write_b128 v3, v[66:69] offset:960
	v_mul_u32_u24_e32 v3, 0x780, v27
	v_add_f64 v[24:25], v[129:130], -v[193:194]
	v_add_f64 v[26:27], v[131:132], -v[195:196]
	v_fma_f64 v[62:63], v[125:126], 2.0, -v[20:21]
	v_fma_f64 v[64:65], v[127:128], 2.0, -v[22:23]
	v_add3_u32 v3, 0, v3, v7
	ds_write_b128 v3, v[54:57]
	ds_write_b128 v3, v[58:61] offset:960
	v_mul_u32_u24_e32 v3, 0x780, v28
	v_add_f64 v[58:59], v[133:134], -v[197:198]
	v_add_f64 v[60:61], v[135:136], -v[199:200]
	v_add3_u32 v3, 0, v3, v29
	v_fma_f64 v[54:55], v[129:130], 2.0, -v[24:25]
	v_fma_f64 v[56:57], v[131:132], 2.0, -v[26:27]
	ds_write_b128 v3, v[20:23] offset:960
	v_add_f64 v[20:21], v[141:142], -v[201:202]
	v_add_f64 v[22:23], v[143:144], -v[203:204]
	ds_write_b128 v3, v[62:65]
	v_mul_u32_u24_e32 v3, 0x780, v30
	v_add3_u32 v3, 0, v3, v31
	v_fma_f64 v[28:29], v[133:134], 2.0, -v[58:59]
	v_fma_f64 v[30:31], v[135:136], 2.0, -v[60:61]
	ds_write_b128 v3, v[54:57]
	ds_write_b128 v3, v[24:27] offset:960
	v_add_f64 v[24:25], v[145:146], -v[205:206]
	v_add_f64 v[26:27], v[147:148], -v[207:208]
	v_fma_f64 v[54:55], v[141:142], 2.0, -v[20:21]
	v_fma_f64 v[56:57], v[143:144], 2.0, -v[22:23]
	v_mul_u32_u24_e32 v3, 0x780, v37
	v_add3_u32 v3, 0, v3, v34
	ds_write_b128 v3, v[28:31]
	ds_write_b128 v3, v[58:61] offset:960
	v_mul_u32_u24_e32 v3, 0x780, v38
	v_add3_u32 v3, 0, v3, v39
	v_fma_f64 v[28:29], v[145:146], 2.0, -v[24:25]
	v_fma_f64 v[30:31], v[147:148], 2.0, -v[26:27]
	ds_write_b128 v3, v[54:57]
	v_add_f64 v[54:55], v[149:150], -v[209:210]
	v_add_f64 v[56:57], v[151:152], -v[211:212]
	ds_write_b128 v3, v[20:23] offset:960
	v_mul_u32_u24_e32 v3, 0x780, v40
	v_add_f64 v[20:21], v[157:158], -v[213:214]
	v_add_f64 v[22:23], v[159:160], -v[215:216]
	v_add3_u32 v3, 0, v3, v49
	ds_write_b128 v3, v[28:31]
	v_fma_f64 v[28:29], v[149:150], 2.0, -v[54:55]
	v_fma_f64 v[30:31], v[151:152], 2.0, -v[56:57]
	v_add_f64 v[37:38], v[161:162], -v[217:218]
	v_add_f64 v[39:40], v[163:164], -v[219:220]
	ds_write_b128 v3, v[24:27] offset:960
	v_mul_u32_u24_e32 v3, 0x780, v35
	v_fma_f64 v[24:25], v[157:158], 2.0, -v[20:21]
	v_fma_f64 v[26:27], v[159:160], 2.0, -v[22:23]
	v_add3_u32 v3, 0, v3, v36
	ds_write_b128 v3, v[28:31]
	v_fma_f64 v[28:29], v[161:162], 2.0, -v[37:38]
	v_fma_f64 v[30:31], v[163:164], 2.0, -v[39:40]
	ds_write_b128 v3, v[54:57] offset:960
	v_mul_u32_u24_e32 v3, 0x780, v50
	v_add3_u32 v3, 0, v3, v51
	ds_write_b128 v3, v[24:27]
	ds_write_b128 v3, v[20:23] offset:960
	v_mul_u32_u24_e32 v3, 0x780, v52
	v_add3_u32 v3, 0, v3, v53
	ds_write_b128 v3, v[28:31]
	ds_write_b128 v3, v[37:40] offset:960
	v_add_u32_e32 v3, 0xffffff88, v0
	v_cndmask_b32_e64 v3, v3, v0, s[0:1]
	v_mov_b32_e32 v4, 0
	v_lshlrev_b64 v[20:21], 4, v[3:4]
	v_mov_b32_e32 v7, s13
	v_add_co_u32_e64 v22, s[0:1], s12, v20
	v_addc_co_u32_e64 v23, s[0:1], v7, v21, s[0:1]
	s_waitcnt lgkmcnt(0)
	s_barrier
	v_lshlrev_b32_sdwa v20, v124, v2 dst_sel:DWORD dst_unused:UNUSED_PAD src0_sel:DWORD src1_sel:BYTE_0
	global_load_dwordx4 v[53:56], v[22:23], off offset:1760
	global_load_dwordx4 v[57:60], v20, s[12:13] offset:1760
	v_lshrrev_b32_e32 v21, 22, v5
	v_mul_lo_u16_e32 v2, 0x78, v21
	v_sub_u16_e32 v2, v94, v2
	v_lshlrev_b32_e32 v23, 4, v2
	global_load_dwordx4 v[61:64], v23, s[12:13] offset:1760
	v_lshrrev_b32_e32 v24, 22, v14
	v_lshrrev_b32_e32 v22, 22, v16
	v_mul_lo_u16_e32 v5, 0x78, v24
	v_mul_lo_u16_e32 v2, 0x78, v22
	v_sub_u16_e32 v5, v118, v5
	v_lshrrev_b32_e32 v26, 22, v15
	v_sub_u16_e32 v2, v116, v2
	v_lshlrev_b32_e32 v25, 4, v5
	v_mul_lo_u16_e32 v5, 0x78, v26
	v_lshlrev_b32_e32 v2, 4, v2
	global_load_dwordx4 v[65:68], v2, s[12:13] offset:1760
	v_sub_u16_e32 v5, v114, v5
	v_lshrrev_b32_e32 v28, 22, v13
	v_lshlrev_b32_e32 v27, 4, v5
	v_mul_lo_u16_e32 v5, 0x78, v28
	v_sub_u16_e32 v5, v120, v5
	v_lshlrev_b32_e32 v5, 4, v5
	global_load_dwordx4 v[69:72], v25, s[12:13] offset:1760
	global_load_dwordx4 v[73:76], v27, s[12:13] offset:1760
	;; [unrolled: 1-line block ×3, first 2 shown]
	v_lshrrev_b32_e32 v29, 22, v8
	v_mul_lo_u16_e32 v30, 0x78, v29
	v_sub_u16_e32 v30, v104, v30
	v_lshlrev_b32_e32 v30, 4, v30
	global_load_dwordx4 v[124:127], v30, s[12:13] offset:1760
	v_lshrrev_b32_e32 v34, 22, v17
	v_mul_lo_u16_e32 v31, 0x78, v34
	v_lshrrev_b32_e32 v36, 22, v18
	v_sub_u16_e32 v31, v100, v31
	v_lshrrev_b32_e32 v38, 22, v19
	v_mul_lo_u16_e32 v32, 0x78, v36
	v_lshlrev_b32_e32 v35, 4, v31
	v_mul_lo_u16_e32 v31, 0x78, v38
	v_sub_u16_e32 v32, v112, v32
	v_sub_u16_e32 v31, v98, v31
	v_lshlrev_b32_e32 v37, 4, v32
	v_lshlrev_b32_e32 v31, 4, v31
	global_load_dwordx4 v[128:131], v35, s[12:13] offset:1760
	global_load_dwordx4 v[132:135], v31, s[12:13] offset:1760
	;; [unrolled: 1-line block ×3, first 2 shown]
	v_lshrrev_b32_e32 v39, 22, v9
	v_mul_lo_u16_e32 v32, 0x78, v39
	v_sub_u16_e32 v32, v110, v32
	v_lshlrev_b32_e32 v49, 4, v32
	global_load_dwordx4 v[140:143], v49, s[12:13] offset:1760
	v_lshrrev_b32_e32 v32, 22, v12
	v_lshrrev_b32_e32 v51, 22, v10
	v_mul_lo_u16_e32 v33, 0x78, v32
	v_lshrrev_b32_e32 v40, 22, v11
	v_mul_lo_u16_e32 v52, 0x78, v51
	v_sub_u16_e32 v33, v108, v33
	v_mul_lo_u16_e32 v50, 0x78, v40
	v_sub_u16_e32 v52, v106, v52
	v_lshlrev_b32_e32 v33, 4, v33
	v_sub_u16_e32 v50, v102, v50
	v_lshlrev_b32_e32 v52, 4, v52
	v_lshlrev_b32_e32 v50, 4, v50
	global_load_dwordx4 v[144:147], v33, s[12:13] offset:1760
	global_load_dwordx4 v[148:151], v50, s[12:13] offset:1760
	;; [unrolled: 1-line block ×3, first 2 shown]
	ds_read_b128 v[156:159], v122 offset:30720
	ds_read_b128 v[160:163], v122 offset:32768
	ds_read_b128 v[164:167], v122
	ds_read_b128 v[168:171], v122 offset:34816
	ds_read_b128 v[172:175], v122 offset:36864
	;; [unrolled: 1-line block ×3, first 2 shown]
	s_movk_i32 s0, 0x77
	v_cmp_lt_u32_e64 s[0:1], s0, v0
	v_lshlrev_b32_e32 v3, 4, v3
	v_lshrrev_b32_e32 v16, 23, v16
	v_lshrrev_b32_e32 v14, 23, v14
	v_mul_lo_u16_e32 v14, 0xf0, v14
	v_sub_u16_e32 v14, v118, v14
	v_lshrrev_b32_e32 v13, 23, v13
	v_mul_lo_u16_e32 v13, 0xf0, v13
	v_sub_u16_e32 v13, v120, v13
	v_lshlrev_b32_e32 v13, 4, v13
	s_waitcnt vmcnt(14) lgkmcnt(5)
	v_mul_f64 v[180:181], v[158:159], v[55:56]
	s_waitcnt vmcnt(13) lgkmcnt(4)
	v_mul_f64 v[182:183], v[162:163], v[59:60]
	v_mul_f64 v[59:60], v[160:161], v[59:60]
	;; [unrolled: 1-line block ×3, first 2 shown]
	s_waitcnt vmcnt(12) lgkmcnt(2)
	v_mul_f64 v[184:185], v[170:171], v[63:64]
	v_mul_f64 v[63:64], v[168:169], v[63:64]
	v_fma_f64 v[156:157], v[156:157], v[53:54], v[180:181]
	v_fma_f64 v[160:161], v[160:161], v[57:58], v[182:183]
	v_fma_f64 v[162:163], v[162:163], v[57:58], -v[59:60]
	ds_read_b128 v[57:60], v122 offset:43008
	v_fma_f64 v[158:159], v[158:159], v[53:54], -v[55:56]
	ds_read_b128 v[53:56], v122 offset:40960
	v_fma_f64 v[168:169], v[168:169], v[61:62], v[184:185]
	v_fma_f64 v[170:171], v[170:171], v[61:62], -v[63:64]
	ds_read_b128 v[61:64], v122 offset:45056
	s_waitcnt vmcnt(11) lgkmcnt(4)
	v_mul_f64 v[186:187], v[174:175], v[67:68]
	v_mul_f64 v[67:68], v[172:173], v[67:68]
	s_waitcnt vmcnt(10) lgkmcnt(3)
	v_mul_f64 v[180:181], v[178:179], v[71:72]
	s_waitcnt vmcnt(9) lgkmcnt(1)
	v_mul_f64 v[182:183], v[55:56], v[75:76]
	s_waitcnt vmcnt(8)
	v_mul_f64 v[184:185], v[59:60], v[79:80]
	v_mul_f64 v[79:80], v[57:58], v[79:80]
	v_mul_f64 v[75:76], v[53:54], v[75:76]
	v_fma_f64 v[172:173], v[172:173], v[65:66], v[186:187]
	v_fma_f64 v[174:175], v[174:175], v[65:66], -v[67:68]
	s_waitcnt vmcnt(7) lgkmcnt(0)
	v_mul_f64 v[186:187], v[63:64], v[126:127]
	v_mul_f64 v[126:127], v[61:62], v[126:127]
	ds_read_b128 v[65:68], v122 offset:47104
	v_fma_f64 v[184:185], v[57:58], v[77:78], v[184:185]
	v_fma_f64 v[188:189], v[59:60], v[77:78], -v[79:80]
	ds_read_b128 v[57:60], v122 offset:51200
	v_mul_f64 v[71:72], v[176:177], v[71:72]
	v_fma_f64 v[176:177], v[176:177], v[69:70], v[180:181]
	v_fma_f64 v[180:181], v[53:54], v[73:74], v[182:183]
	v_fma_f64 v[182:183], v[55:56], v[73:74], -v[75:76]
	ds_read_b128 v[53:56], v122 offset:49152
	v_fma_f64 v[186:187], v[61:62], v[124:125], v[186:187]
	s_waitcnt vmcnt(6) lgkmcnt(2)
	v_mul_f64 v[73:74], v[67:68], v[130:131]
	v_fma_f64 v[190:191], v[63:64], v[124:125], -v[126:127]
	ds_read_b128 v[61:64], v122 offset:53248
	s_waitcnt vmcnt(4) lgkmcnt(2)
	v_mul_f64 v[124:125], v[59:60], v[138:139]
	v_mul_f64 v[126:127], v[57:58], v[138:139]
	s_waitcnt lgkmcnt(1)
	v_mul_f64 v[77:78], v[55:56], v[134:135]
	v_mul_f64 v[79:80], v[53:54], v[134:135]
	;; [unrolled: 1-line block ×3, first 2 shown]
	v_fma_f64 v[192:193], v[65:66], v[128:129], v[73:74]
	s_waitcnt vmcnt(3) lgkmcnt(0)
	v_mul_f64 v[65:66], v[61:62], v[142:143]
	v_mul_f64 v[130:131], v[63:64], v[142:143]
	v_fma_f64 v[200:201], v[57:58], v[136:137], v[124:125]
	v_fma_f64 v[202:203], v[59:60], v[136:137], -v[126:127]
	ds_read_b128 v[57:60], v122 offset:59392
	v_fma_f64 v[178:179], v[178:179], v[69:70], -v[71:72]
	ds_read_b128 v[69:72], v122 offset:55296
	v_fma_f64 v[196:197], v[53:54], v[132:133], v[77:78]
	v_fma_f64 v[198:199], v[55:56], v[132:133], -v[79:80]
	ds_read_b128 v[53:56], v122 offset:57344
	v_fma_f64 v[194:195], v[67:68], v[128:129], -v[75:76]
	v_fma_f64 v[206:207], v[63:64], v[140:141], -v[65:66]
	s_waitcnt vmcnt(0) lgkmcnt(2)
	v_mul_f64 v[77:78], v[59:60], v[154:155]
	s_waitcnt lgkmcnt(1)
	v_mul_f64 v[65:66], v[71:72], v[146:147]
	v_mul_f64 v[67:68], v[69:70], v[146:147]
	s_waitcnt lgkmcnt(0)
	v_mul_f64 v[73:74], v[55:56], v[150:151]
	v_mul_f64 v[75:76], v[53:54], v[150:151]
	;; [unrolled: 1-line block ×3, first 2 shown]
	v_fma_f64 v[204:205], v[61:62], v[140:141], v[130:131]
	v_add_f64 v[61:62], v[164:165], -v[156:157]
	v_add_f64 v[63:64], v[166:167], -v[158:159]
	v_fma_f64 v[216:217], v[57:58], v[152:153], v[77:78]
	v_mov_b32_e32 v57, 0xf00
	v_cndmask_b32_e64 v57, 0, v57, s[0:1]
	v_fma_f64 v[208:209], v[69:70], v[144:145], v[65:66]
	v_fma_f64 v[210:211], v[71:72], v[144:145], -v[67:68]
	v_fma_f64 v[212:213], v[53:54], v[148:149], v[73:74]
	v_fma_f64 v[214:215], v[55:56], v[148:149], -v[75:76]
	v_fma_f64 v[218:219], v[59:60], v[152:153], -v[79:80]
	v_add3_u32 v3, 0, v57, v3
	ds_read_b128 v[57:60], v89
	ds_read_b128 v[65:68], v88
	;; [unrolled: 1-line block ×12, first 2 shown]
	s_waitcnt lgkmcnt(11)
	v_add_f64 v[152:153], v[57:58], -v[160:161]
	v_add_f64 v[154:155], v[59:60], -v[162:163]
	v_fma_f64 v[53:54], v[164:165], 2.0, -v[61:62]
	v_fma_f64 v[55:56], v[166:167], 2.0, -v[63:64]
	s_waitcnt lgkmcnt(10)
	v_add_f64 v[164:165], v[65:66], -v[168:169]
	v_add_f64 v[166:167], v[67:68], -v[170:171]
	ds_read_b128 v[156:159], v42
	ds_read_b128 v[160:163], v41
	s_waitcnt lgkmcnt(0)
	v_fma_f64 v[57:58], v[57:58], 2.0, -v[152:153]
	v_fma_f64 v[59:60], v[59:60], 2.0, -v[154:155]
	s_barrier
	ds_write_b128 v3, v[53:56]
	ds_write_b128 v3, v[61:64] offset:1920
	v_fma_f64 v[53:54], v[65:66], 2.0, -v[164:165]
	v_fma_f64 v[55:56], v[67:68], 2.0, -v[166:167]
	v_mul_u32_u24_e32 v3, 0xf00, v6
	v_add3_u32 v3, 0, v3, v20
	ds_write_b128 v3, v[57:60]
	v_add_f64 v[57:58], v[69:70], -v[172:173]
	v_add_f64 v[59:60], v[71:72], -v[174:175]
	ds_write_b128 v3, v[152:155] offset:1920
	v_mul_u32_u24_e32 v3, 0xf00, v21
	v_add3_u32 v3, 0, v3, v23
	ds_write_b128 v3, v[53:56]
	v_add_f64 v[53:54], v[73:74], -v[176:177]
	v_add_f64 v[55:56], v[75:76], -v[178:179]
	v_fma_f64 v[61:62], v[69:70], 2.0, -v[57:58]
	v_fma_f64 v[63:64], v[71:72], 2.0, -v[59:60]
	ds_write_b128 v3, v[164:167] offset:1920
	v_mul_u32_u24_e32 v3, 0xf00, v22
	v_add_f64 v[20:21], v[136:137], -v[180:181]
	v_add_f64 v[22:23], v[138:139], -v[182:183]
	v_fma_f64 v[65:66], v[73:74], 2.0, -v[53:54]
	v_fma_f64 v[67:68], v[75:76], 2.0, -v[55:56]
	v_add3_u32 v2, 0, v3, v2
	ds_write_b128 v2, v[61:64]
	ds_write_b128 v2, v[57:60] offset:1920
	v_mul_u32_u24_e32 v2, 0xf00, v24
	v_add3_u32 v2, 0, v2, v25
	v_add_f64 v[61:62], v[77:78], -v[184:185]
	v_add_f64 v[63:64], v[79:80], -v[188:189]
	ds_write_b128 v2, v[53:56] offset:1920
	ds_write_b128 v2, v[65:68]
	v_mul_u32_u24_e32 v2, 0xf00, v26
	v_fma_f64 v[57:58], v[136:137], 2.0, -v[20:21]
	v_fma_f64 v[59:60], v[138:139], 2.0, -v[22:23]
	v_add3_u32 v2, 0, v2, v27
	v_add_f64 v[24:25], v[124:125], -v[186:187]
	v_add_f64 v[26:27], v[126:127], -v[190:191]
	v_fma_f64 v[53:54], v[77:78], 2.0, -v[61:62]
	v_fma_f64 v[55:56], v[79:80], 2.0, -v[63:64]
	ds_write_b128 v2, v[20:23] offset:1920
	v_add_f64 v[20:21], v[128:129], -v[192:193]
	ds_write_b128 v2, v[57:60]
	v_add_f64 v[22:23], v[130:131], -v[194:195]
	v_fma_f64 v[57:58], v[124:125], 2.0, -v[24:25]
	v_fma_f64 v[59:60], v[126:127], 2.0, -v[26:27]
	v_mul_u32_u24_e32 v2, 0xf00, v28
	v_add3_u32 v2, 0, v2, v5
	ds_write_b128 v2, v[53:56]
	ds_write_b128 v2, v[61:64] offset:1920
	v_mul_u32_u24_e32 v2, 0xf00, v29
	v_add3_u32 v2, 0, v2, v30
	v_fma_f64 v[53:54], v[128:129], 2.0, -v[20:21]
	v_fma_f64 v[55:56], v[130:131], 2.0, -v[22:23]
	ds_write_b128 v2, v[57:60]
	v_add_f64 v[57:58], v[132:133], -v[196:197]
	v_add_f64 v[59:60], v[134:135], -v[198:199]
	ds_write_b128 v2, v[24:27] offset:1920
	v_mul_u32_u24_e32 v2, 0xf00, v34
	v_add3_u32 v2, 0, v2, v35
	v_add_f64 v[24:25], v[140:141], -v[200:201]
	v_add_f64 v[26:27], v[142:143], -v[202:203]
	ds_write_b128 v2, v[53:56]
	v_fma_f64 v[53:54], v[132:133], 2.0, -v[57:58]
	v_fma_f64 v[55:56], v[134:135], 2.0, -v[59:60]
	ds_write_b128 v2, v[20:23] offset:1920
	v_add_f64 v[20:21], v[144:145], -v[204:205]
	v_add_f64 v[22:23], v[146:147], -v[206:207]
	v_mul_u32_u24_e32 v2, 0xf00, v38
	v_fma_f64 v[61:62], v[140:141], 2.0, -v[24:25]
	v_fma_f64 v[63:64], v[142:143], 2.0, -v[26:27]
	v_add3_u32 v2, 0, v2, v31
	ds_write_b128 v2, v[53:56]
	ds_write_b128 v2, v[57:60] offset:1920
	v_mul_u32_u24_e32 v2, 0xf00, v36
	v_fma_f64 v[28:29], v[144:145], 2.0, -v[20:21]
	v_fma_f64 v[30:31], v[146:147], 2.0, -v[22:23]
	v_add3_u32 v2, 0, v2, v37
	v_add_f64 v[34:35], v[148:149], -v[208:209]
	v_add_f64 v[36:37], v[150:151], -v[210:211]
	ds_write_b128 v2, v[61:64]
	ds_write_b128 v2, v[24:27] offset:1920
	v_mul_u32_u24_e32 v2, 0xf00, v39
	v_add_f64 v[24:25], v[156:157], -v[212:213]
	v_add_f64 v[26:27], v[158:159], -v[214:215]
	v_add3_u32 v2, 0, v2, v49
	ds_write_b128 v2, v[28:31]
	v_fma_f64 v[28:29], v[148:149], 2.0, -v[34:35]
	v_fma_f64 v[30:31], v[150:151], 2.0, -v[36:37]
	v_add_f64 v[53:54], v[160:161], -v[216:217]
	v_add_f64 v[55:56], v[162:163], -v[218:219]
	ds_write_b128 v2, v[20:23] offset:1920
	v_mul_u32_u24_e32 v2, 0xf00, v32
	v_fma_f64 v[20:21], v[156:157], 2.0, -v[24:25]
	v_fma_f64 v[22:23], v[158:159], 2.0, -v[26:27]
	v_add3_u32 v2, 0, v2, v33
	ds_write_b128 v2, v[28:31]
	v_fma_f64 v[28:29], v[160:161], 2.0, -v[53:54]
	v_fma_f64 v[30:31], v[162:163], 2.0, -v[55:56]
	ds_write_b128 v2, v[34:37] offset:1920
	v_mul_u32_u24_e32 v2, 0xf00, v40
	v_add3_u32 v2, 0, v2, v50
	ds_write_b128 v2, v[20:23]
	ds_write_b128 v2, v[24:27] offset:1920
	v_mul_u32_u24_e32 v2, 0xf00, v51
	v_add3_u32 v2, 0, v2, v52
	ds_write_b128 v2, v[28:31]
	ds_write_b128 v2, v[53:56] offset:1920
	v_lshlrev_b64 v[1:2], 4, v[0:1]
	s_waitcnt lgkmcnt(0)
	v_add_co_u32_e64 v5, s[0:1], s12, v1
	v_addc_co_u32_e64 v6, s[0:1], v7, v2, s[0:1]
	s_barrier
	global_load_dwordx4 v[34:37], v[5:6], off offset:3680
	s_movk_i32 s0, 0xf0
	v_add_u32_e32 v3, 0xffffff90, v0
	v_cmp_gt_u32_e64 s[0:1], s0, v96
	v_cndmask_b32_e64 v3, v3, v96, s[0:1]
	v_lshlrev_b64 v[20:21], 4, v[3:4]
	v_lshrrev_b32_e32 v23, 23, v8
	v_add_co_u32_e64 v20, s[0:1], s12, v20
	v_addc_co_u32_e64 v21, s[0:1], v7, v21, s[0:1]
	global_load_dwordx4 v[49:52], v[20:21], off offset:3680
	global_load_dwordx4 v[53:56], v[5:6], off offset:3936
	v_mul_lo_u16_e32 v20, 0xf0, v16
	v_sub_u16_e32 v20, v116, v20
	v_lshlrev_b32_e32 v20, 4, v20
	global_load_dwordx4 v[57:60], v20, s[12:13] offset:3680
	v_lshlrev_b32_e32 v21, 4, v14
	global_load_dwordx4 v[61:64], v21, s[12:13] offset:3680
	v_lshrrev_b32_e32 v14, 23, v15
	v_mul_lo_u16_e32 v15, 0xf0, v14
	v_sub_u16_e32 v15, v114, v15
	v_lshlrev_b32_e32 v15, 4, v15
	global_load_dwordx4 v[65:68], v15, s[12:13] offset:3680
	global_load_dwordx4 v[69:72], v13, s[12:13] offset:3680
	v_mul_lo_u16_e32 v22, 0xf0, v23
	v_sub_u16_e32 v22, v104, v22
	v_lshlrev_b32_e32 v24, 4, v22
	v_lshrrev_b32_e32 v22, 23, v17
	global_load_dwordx4 v[73:76], v24, s[12:13] offset:3680
	v_mul_lo_u16_e32 v22, 0xf0, v22
	v_sub_u16_e32 v22, v100, v22
	v_lshlrev_b32_e32 v22, 4, v22
	global_load_dwordx4 v[77:80], v22, s[12:13] offset:3680
	v_lshrrev_b32_e32 v26, 23, v19
	v_mul_lo_u16_e32 v25, 0xf0, v26
	v_sub_u16_e32 v25, v98, v25
	v_lshlrev_b32_e32 v27, 4, v25
	v_lshrrev_b32_e32 v25, 23, v18
	global_load_dwordx4 v[124:127], v27, s[12:13] offset:3680
	v_mul_lo_u16_e32 v25, 0xf0, v25
	v_sub_u16_e32 v25, v112, v25
	v_lshrrev_b32_e32 v29, 23, v9
	v_lshlrev_b32_e32 v28, 4, v25
	v_mul_lo_u16_e32 v25, 0xf0, v29
	v_sub_u16_e32 v25, v110, v25
	v_lshlrev_b32_e32 v30, 4, v25
	v_lshrrev_b32_e32 v25, 23, v12
	v_mul_lo_u16_e32 v25, 0xf0, v25
	v_sub_u16_e32 v25, v108, v25
	v_lshlrev_b32_e32 v25, 4, v25
	global_load_dwordx4 v[136:139], v25, s[12:13] offset:3680
	global_load_dwordx4 v[128:131], v28, s[12:13] offset:3680
	;; [unrolled: 1-line block ×3, first 2 shown]
	v_lshrrev_b32_e32 v31, 23, v11
	v_mul_lo_u16_e32 v32, 0xf0, v31
	v_sub_u16_e32 v32, v102, v32
	v_lshlrev_b32_e32 v32, 4, v32
	global_load_dwordx4 v[140:143], v32, s[12:13] offset:3680
	v_lshrrev_b32_e32 v33, 23, v10
	v_mul_lo_u16_e32 v33, 0xf0, v33
	v_sub_u16_e32 v33, v106, v33
	v_lshlrev_b32_e32 v33, 4, v33
	global_load_dwordx4 v[144:147], v33, s[12:13] offset:3680
	ds_read_b128 v[148:151], v122 offset:30720
	ds_read_b128 v[152:155], v122
	ds_read_b128 v[156:159], v122 offset:32768
	s_movk_i32 s0, 0xef
	v_cmp_lt_u32_e64 s[0:1], s0, v96
	v_lshlrev_b32_e32 v3, 4, v3
	v_mul_lo_u16_sdwa v17, v17, s5 dst_sel:DWORD dst_unused:UNUSED_PAD src0_sel:BYTE_3 src1_sel:DWORD
	v_sub_u16_e32 v17, v100, v17
	v_lshlrev_b32_e32 v17, 4, v17
	v_mul_lo_u16_sdwa v19, v19, s5 dst_sel:DWORD dst_unused:UNUSED_PAD src0_sel:BYTE_3 src1_sel:DWORD
	v_sub_u16_e32 v19, v98, v19
	;; [unrolled: 3-line block ×4, first 2 shown]
	v_lshlrev_b32_e32 v12, 4, v12
	s_waitcnt vmcnt(14) lgkmcnt(2)
	v_mul_f64 v[160:161], v[150:151], v[36:37]
	v_mul_f64 v[164:165], v[148:149], v[36:37]
	ds_read_b128 v[36:39], v122 offset:34816
	v_mul_lo_u16_sdwa v11, v11, s5 dst_sel:DWORD dst_unused:UNUSED_PAD src0_sel:BYTE_3 src1_sel:DWORD
	v_sub_u16_e32 v11, v102, v11
	v_lshlrev_b32_e32 v11, 4, v11
	v_mul_lo_u16_sdwa v10, v10, s5 dst_sel:DWORD dst_unused:UNUSED_PAD src0_sel:BYTE_3 src1_sel:DWORD
	v_sub_u16_e32 v10, v106, v10
	v_fma_f64 v[168:169], v[148:149], v[34:35], v[160:161]
	ds_read_b128 v[160:163], v122 offset:36864
	s_waitcnt vmcnt(13) lgkmcnt(2)
	v_mul_f64 v[166:167], v[158:159], v[51:52]
	s_waitcnt vmcnt(12) lgkmcnt(1)
	v_mul_f64 v[170:171], v[38:39], v[55:56]
	v_fma_f64 v[164:165], v[150:151], v[34:35], -v[164:165]
	ds_read_b128 v[148:151], v122 offset:38912
	v_mul_f64 v[34:35], v[36:37], v[55:56]
	v_mul_f64 v[51:52], v[156:157], v[51:52]
	s_waitcnt vmcnt(11) lgkmcnt(1)
	v_mul_f64 v[55:56], v[162:163], v[59:60]
	v_mul_f64 v[59:60], v[160:161], v[59:60]
	v_fma_f64 v[156:157], v[156:157], v[49:50], v[166:167]
	v_fma_f64 v[166:167], v[36:37], v[53:54], v[170:171]
	s_waitcnt vmcnt(10) lgkmcnt(0)
	v_mul_f64 v[170:171], v[150:151], v[63:64]
	v_mul_f64 v[63:64], v[148:149], v[63:64]
	v_fma_f64 v[38:39], v[38:39], v[53:54], -v[34:35]
	ds_read_b128 v[34:37], v122 offset:40960
	v_fma_f64 v[158:159], v[158:159], v[49:50], -v[51:52]
	ds_read_b128 v[49:52], v122 offset:43008
	v_fma_f64 v[160:161], v[160:161], v[57:58], v[55:56]
	ds_read_b128 v[53:56], v122 offset:45056
	s_waitcnt vmcnt(9) lgkmcnt(2)
	v_mul_f64 v[172:173], v[36:37], v[67:68]
	v_mul_f64 v[67:68], v[34:35], v[67:68]
	v_fma_f64 v[162:163], v[162:163], v[57:58], -v[59:60]
	ds_read_b128 v[57:60], v122 offset:47104
	v_fma_f64 v[170:171], v[148:149], v[61:62], v[170:171]
	s_waitcnt vmcnt(8) lgkmcnt(2)
	v_mul_f64 v[148:149], v[51:52], v[71:72]
	v_mul_f64 v[71:72], v[49:50], v[71:72]
	v_fma_f64 v[174:175], v[150:151], v[61:62], -v[63:64]
	s_waitcnt vmcnt(7) lgkmcnt(1)
	v_mul_f64 v[63:64], v[53:54], v[75:76]
	v_fma_f64 v[172:173], v[34:35], v[65:66], v[172:173]
	v_mul_f64 v[61:62], v[55:56], v[75:76]
	s_waitcnt vmcnt(6) lgkmcnt(0)
	v_mul_f64 v[75:76], v[59:60], v[79:80]
	v_fma_f64 v[176:177], v[36:37], v[65:66], -v[67:68]
	v_mul_f64 v[65:66], v[57:58], v[79:80]
	ds_read_b128 v[34:37], v122 offset:49152
	v_fma_f64 v[178:179], v[49:50], v[69:70], v[148:149]
	v_fma_f64 v[180:181], v[51:52], v[69:70], -v[71:72]
	ds_read_b128 v[49:52], v122 offset:51200
	v_fma_f64 v[184:185], v[55:56], v[73:74], -v[63:64]
	s_waitcnt vmcnt(5) lgkmcnt(1)
	v_mul_f64 v[63:64], v[34:35], v[126:127]
	v_fma_f64 v[182:183], v[53:54], v[73:74], v[61:62]
	v_fma_f64 v[186:187], v[57:58], v[77:78], v[75:76]
	v_mul_f64 v[61:62], v[36:37], v[126:127]
	ds_read_b128 v[53:56], v122 offset:53248
	v_fma_f64 v[188:189], v[59:60], v[77:78], -v[65:66]
	ds_read_b128 v[57:60], v122 offset:55296
	s_waitcnt vmcnt(3) lgkmcnt(2)
	v_mul_f64 v[65:66], v[51:52], v[130:131]
	v_mul_f64 v[67:68], v[49:50], v[130:131]
	s_waitcnt vmcnt(2) lgkmcnt(1)
	v_mul_f64 v[69:70], v[55:56], v[134:135]
	v_fma_f64 v[192:193], v[36:37], v[124:125], -v[63:64]
	s_waitcnt lgkmcnt(0)
	v_mul_f64 v[63:64], v[59:60], v[138:139]
	v_mul_f64 v[71:72], v[57:58], v[138:139]
	v_fma_f64 v[190:191], v[34:35], v[124:125], v[61:62]
	v_mul_f64 v[61:62], v[53:54], v[134:135]
	ds_read_b128 v[34:37], v122 offset:57344
	v_fma_f64 v[194:195], v[49:50], v[128:129], v[65:66]
	v_fma_f64 v[196:197], v[51:52], v[128:129], -v[67:68]
	ds_read_b128 v[49:52], v122 offset:59392
	v_fma_f64 v[198:199], v[53:54], v[132:133], v[69:70]
	v_fma_f64 v[202:203], v[57:58], v[136:137], v[63:64]
	v_fma_f64 v[204:205], v[59:60], v[136:137], -v[71:72]
	s_waitcnt vmcnt(1) lgkmcnt(1)
	v_mul_f64 v[69:70], v[36:37], v[142:143]
	v_mul_f64 v[71:72], v[34:35], v[142:143]
	v_add_f64 v[57:58], v[152:153], -v[168:169]
	v_add_f64 v[59:60], v[154:155], -v[164:165]
	v_fma_f64 v[200:201], v[55:56], v[132:133], -v[61:62]
	ds_read_b128 v[53:56], v89
	ds_read_b128 v[61:64], v88
	s_waitcnt vmcnt(0) lgkmcnt(2)
	v_mul_f64 v[73:74], v[51:52], v[146:147]
	v_mul_f64 v[75:76], v[49:50], v[146:147]
	v_fma_f64 v[164:165], v[34:35], v[140:141], v[69:70]
	s_waitcnt lgkmcnt(1)
	v_add_f64 v[65:66], v[53:54], -v[156:157]
	v_add_f64 v[67:68], v[55:56], -v[158:159]
	v_fma_f64 v[168:169], v[36:37], v[140:141], -v[71:72]
	v_fma_f64 v[34:35], v[152:153], 2.0, -v[57:58]
	v_fma_f64 v[36:37], v[154:155], 2.0, -v[59:60]
	v_fma_f64 v[206:207], v[49:50], v[144:145], v[73:74]
	v_fma_f64 v[208:209], v[51:52], v[144:145], -v[75:76]
	v_lshlrev_b32_e32 v10, 4, v10
	v_fma_f64 v[49:50], v[53:54], 2.0, -v[65:66]
	v_fma_f64 v[51:52], v[55:56], 2.0, -v[67:68]
	ds_read_b128 v[53:56], v83
	ds_read_b128 v[69:72], v82
	;; [unrolled: 1-line block ×12, first 2 shown]
	s_waitcnt lgkmcnt(0)
	s_barrier
	ds_write_b128 v122, v[34:37]
	v_add_f64 v[34:35], v[61:62], -v[166:167]
	v_add_f64 v[36:37], v[63:64], -v[38:39]
	v_mov_b32_e32 v38, 0x1e00
	v_cndmask_b32_e64 v38, 0, v38, s[0:1]
	v_add_f64 v[156:157], v[53:54], -v[160:161]
	v_add_f64 v[158:159], v[55:56], -v[162:163]
	v_add3_u32 v3, 0, v38, v3
	ds_write_b128 v122, v[57:60] offset:3840
	v_fma_f64 v[57:58], v[61:62], 2.0, -v[34:35]
	v_fma_f64 v[59:60], v[63:64], 2.0, -v[36:37]
	ds_write_b128 v3, v[49:52]
	ds_write_b128 v3, v[65:68] offset:3840
	v_add_f64 v[49:50], v[69:70], -v[170:171]
	v_add_f64 v[51:52], v[71:72], -v[174:175]
	v_fma_f64 v[53:54], v[53:54], 2.0, -v[156:157]
	v_fma_f64 v[55:56], v[55:56], 2.0, -v[158:159]
	ds_write_b128 v122, v[57:60] offset:7936
	ds_write_b128 v122, v[34:37] offset:11776
	v_add_f64 v[57:58], v[132:133], -v[172:173]
	v_fma_f64 v[34:35], v[69:70], 2.0, -v[49:50]
	v_fma_f64 v[36:37], v[71:72], 2.0, -v[51:52]
	v_add_f64 v[59:60], v[134:135], -v[176:177]
	v_mul_u32_u24_e32 v3, 0x1e00, v16
	v_add3_u32 v3, 0, v3, v20
	ds_write_b128 v3, v[53:56]
	ds_write_b128 v3, v[156:159] offset:3840
	v_add_f64 v[53:54], v[73:74], -v[178:179]
	v_add_f64 v[55:56], v[75:76], -v[180:181]
	v_add_u32_e32 v3, 0, v21
	ds_write_b128 v3, v[34:37] offset:15360
	v_fma_f64 v[34:35], v[132:133], 2.0, -v[57:58]
	v_fma_f64 v[36:37], v[134:135], 2.0, -v[59:60]
	v_add_f64 v[61:62], v[77:78], -v[182:183]
	v_add_f64 v[63:64], v[79:80], -v[184:185]
	ds_write_b128 v3, v[49:52] offset:19200
	v_mul_u32_u24_e32 v3, 0x1e00, v14
	v_fma_f64 v[49:50], v[73:74], 2.0, -v[53:54]
	v_fma_f64 v[51:52], v[75:76], 2.0, -v[55:56]
	v_add3_u32 v3, 0, v3, v15
	ds_write_b128 v3, v[34:37]
	ds_write_b128 v3, v[57:60] offset:3840
	v_fma_f64 v[34:35], v[77:78], 2.0, -v[61:62]
	v_fma_f64 v[36:37], v[79:80], 2.0, -v[63:64]
	v_add_u32_e32 v3, 0, v13
	v_add_f64 v[13:14], v[124:125], -v[186:187]
	v_add_f64 v[15:16], v[126:127], -v[188:189]
	ds_write_b128 v3, v[49:52] offset:23040
	ds_write_b128 v3, v[53:56] offset:26880
	v_mul_u32_u24_e32 v3, 0x1e00, v23
	v_add3_u32 v3, 0, v3, v24
	v_add_f64 v[53:54], v[128:129], -v[190:191]
	v_add_f64 v[55:56], v[130:131], -v[192:193]
	ds_write_b128 v3, v[34:37]
	v_add_f64 v[34:35], v[136:137], -v[194:195]
	v_add_f64 v[36:37], v[138:139], -v[196:197]
	v_fma_f64 v[49:50], v[124:125], 2.0, -v[13:14]
	v_fma_f64 v[51:52], v[126:127], 2.0, -v[15:16]
	ds_write_b128 v3, v[61:64] offset:3840
	v_add_u32_e32 v3, 0, v22
	v_fma_f64 v[20:21], v[128:129], 2.0, -v[53:54]
	v_fma_f64 v[22:23], v[130:131], 2.0, -v[55:56]
	ds_write_b128 v3, v[13:16] offset:34560
	v_fma_f64 v[13:14], v[136:137], 2.0, -v[34:35]
	v_fma_f64 v[15:16], v[138:139], 2.0, -v[36:37]
	ds_write_b128 v3, v[49:52] offset:30720
	v_add_f64 v[49:50], v[140:141], -v[198:199]
	v_add_f64 v[51:52], v[142:143], -v[200:201]
	v_mul_u32_u24_e32 v3, 0x1e00, v26
	v_add3_u32 v3, 0, v3, v27
	ds_write_b128 v3, v[20:23]
	ds_write_b128 v3, v[53:56] offset:3840
	v_add_u32_e32 v3, 0, v28
	ds_write_b128 v3, v[13:16] offset:38400
	ds_write_b128 v3, v[34:37] offset:42240
	v_add_f64 v[13:14], v[144:145], -v[202:203]
	v_add_f64 v[15:16], v[146:147], -v[204:205]
	v_fma_f64 v[20:21], v[140:141], 2.0, -v[49:50]
	v_fma_f64 v[22:23], v[142:143], 2.0, -v[51:52]
	v_mul_u32_u24_e32 v3, 0x1e00, v29
	v_add_f64 v[26:27], v[148:149], -v[164:165]
	v_add_f64 v[28:29], v[150:151], -v[168:169]
	v_add3_u32 v3, 0, v3, v30
	v_fma_f64 v[34:35], v[144:145], 2.0, -v[13:14]
	v_fma_f64 v[36:37], v[146:147], 2.0, -v[15:16]
	ds_write_b128 v3, v[20:23]
	ds_write_b128 v3, v[49:52] offset:3840
	v_add_f64 v[53:54], v[152:153], -v[206:207]
	v_fma_f64 v[20:21], v[148:149], 2.0, -v[26:27]
	v_fma_f64 v[22:23], v[150:151], 2.0, -v[28:29]
	v_add_f64 v[55:56], v[154:155], -v[208:209]
	v_add_u32_e32 v3, 0, v25
	ds_write_b128 v3, v[34:37] offset:46080
	ds_write_b128 v3, v[13:16] offset:49920
	v_mul_u32_u24_e32 v3, 0x1e00, v31
	v_add3_u32 v3, 0, v3, v32
	ds_write_b128 v3, v[20:23]
	ds_write_b128 v3, v[26:29] offset:3840
	v_add_co_u32_e64 v20, s[0:1], s4, v5
	v_lshlrev_b64 v[15:16], 4, v[96:97]
	v_addc_co_u32_e64 v21, s[0:1], 0, v6, s[0:1]
	v_fma_f64 v[49:50], v[152:153], 2.0, -v[53:54]
	v_fma_f64 v[51:52], v[154:155], 2.0, -v[55:56]
	v_add_co_u32_e64 v28, s[0:1], s12, v15
	v_addc_co_u32_e64 v27, s[0:1], v7, v16, s[0:1]
	v_add_co_u32_e64 v22, s[0:1], s4, v28
	v_lshlrev_b64 v[13:14], 4, v[94:95]
	v_addc_co_u32_e64 v23, s[0:1], 0, v27, s[0:1]
	v_add_co_u32_e64 v25, s[0:1], s12, v13
	v_addc_co_u32_e64 v26, s[0:1], v7, v14, s[0:1]
	v_add_u32_e32 v3, 0, v33
	v_add_co_u32_e64 v33, s[0:1], s4, v25
	v_addc_co_u32_e64 v34, s[0:1], 0, v26, s[0:1]
	ds_write_b128 v3, v[49:52] offset:53760
	ds_write_b128 v3, v[53:56] offset:57600
	s_waitcnt lgkmcnt(0)
	s_barrier
	global_load_dwordx4 v[29:32], v[22:23], off offset:3424
	s_nop 0
	global_load_dwordx4 v[33:36], v[33:34], off offset:3424
	v_add_u32_e32 v3, 0xffffffa0, v0
	v_cmp_gt_u32_e64 s[0:1], s5, v116
	global_load_dwordx4 v[37:40], v[20:21], off offset:3424
	global_load_dwordx4 v[49:52], v[20:21], off offset:3936
	v_cndmask_b32_e64 v3, v3, v116, s[0:1]
	v_lshlrev_b64 v[22:23], 4, v[3:4]
	v_lshlrev_b32_e32 v3, 4, v3
	v_add_co_u32_e64 v22, s[0:1], s12, v22
	v_addc_co_u32_e64 v23, s[0:1], v7, v23, s[0:1]
	v_add_co_u32_e64 v22, s[0:1], s4, v22
	v_addc_co_u32_e64 v23, s[0:1], 0, v23, s[0:1]
	s_movk_i32 s0, 0x2000
	v_add_co_u32_e64 v20, s[0:1], s0, v5
	v_addc_co_u32_e64 v21, s[0:1], 0, v6, s[0:1]
	global_load_dwordx4 v[53:56], v[22:23], off offset:3424
	global_load_dwordx4 v[57:60], v[20:21], off offset:1888
	v_add_u32_e32 v20, 0x120, v0
	v_mov_b32_e32 v21, v4
	v_lshlrev_b64 v[20:21], 4, v[20:21]
	v_add_co_u32_e64 v20, s[0:1], s12, v20
	v_addc_co_u32_e64 v22, s[0:1], v7, v21, s[0:1]
	v_add_co_u32_e64 v21, s[0:1], s4, v20
	v_mul_lo_u16_sdwa v20, v8, s5 dst_sel:DWORD dst_unused:UNUSED_PAD src0_sel:BYTE_3 src1_sel:DWORD
	v_sub_u16_e32 v20, v104, v20
	v_addc_co_u32_e64 v22, s[0:1], 0, v22, s[0:1]
	v_lshlrev_b32_e32 v20, 4, v20
	v_add_co_u32_e64 v23, s[0:1], s12, v20
	v_addc_co_u32_e64 v24, s[0:1], 0, v7, s[0:1]
	v_add_co_u32_e64 v23, s[0:1], s4, v23
	v_addc_co_u32_e64 v24, s[0:1], 0, v24, s[0:1]
	global_load_dwordx4 v[61:64], v[21:22], off offset:3424
	global_load_dwordx4 v[65:68], v[23:24], off offset:3424
	v_add_co_u32_e64 v21, s[0:1], s12, v17
	v_addc_co_u32_e64 v22, s[0:1], 0, v7, s[0:1]
	v_add_co_u32_e64 v21, s[0:1], s4, v21
	v_addc_co_u32_e64 v22, s[0:1], 0, v22, s[0:1]
	;; [unrolled: 2-line block ×4, first 2 shown]
	global_load_dwordx4 v[69:72], v[21:22], off offset:3424
	global_load_dwordx4 v[73:76], v[23:24], off offset:3424
	v_add_co_u32_e64 v21, s[0:1], s12, v18
	v_addc_co_u32_e64 v23, s[0:1], 0, v7, s[0:1]
	v_add_co_u32_e64 v22, s[0:1], s4, v21
	v_mul_lo_u16_sdwa v21, v9, s5 dst_sel:DWORD dst_unused:UNUSED_PAD src0_sel:BYTE_3 src1_sel:DWORD
	v_sub_u16_e32 v21, v110, v21
	v_addc_co_u32_e64 v23, s[0:1], 0, v23, s[0:1]
	v_lshlrev_b32_e32 v21, 4, v21
	v_add_co_u32_e64 v24, s[0:1], s12, v21
	v_addc_co_u32_e64 v77, s[0:1], 0, v7, s[0:1]
	v_add_co_u32_e64 v128, s[0:1], s4, v24
	v_addc_co_u32_e64 v129, s[0:1], 0, v77, s[0:1]
	global_load_dwordx4 v[77:80], v[22:23], off offset:3424
	global_load_dwordx4 v[124:127], v[128:129], off offset:3424
	v_add_co_u32_e64 v22, s[0:1], s12, v12
	v_addc_co_u32_e64 v23, s[0:1], 0, v7, s[0:1]
	v_add_co_u32_e64 v22, s[0:1], s4, v22
	v_addc_co_u32_e64 v23, s[0:1], 0, v23, s[0:1]
	;; [unrolled: 2-line block ×4, first 2 shown]
	global_load_dwordx4 v[128:131], v[22:23], off offset:3424
	s_nop 0
	global_load_dwordx4 v[132:135], v[132:133], off offset:3424
	v_add_co_u32_e64 v22, s[0:1], s12, v10
	v_addc_co_u32_e64 v23, s[0:1], 0, v7, s[0:1]
	v_add_co_u32_e64 v22, s[0:1], s4, v22
	v_addc_co_u32_e64 v23, s[0:1], 0, v23, s[0:1]
	global_load_dwordx4 v[136:139], v[22:23], off offset:3424
	ds_read_b128 v[140:143], v122 offset:30720
	ds_read_b128 v[144:147], v122
	ds_read_b128 v[148:151], v122 offset:32768
	ds_read_b128 v[152:155], v122 offset:34816
	;; [unrolled: 1-line block ×3, first 2 shown]
	s_waitcnt vmcnt(12) lgkmcnt(4)
	v_mul_f64 v[22:23], v[142:143], v[39:40]
	v_mul_f64 v[39:40], v[140:141], v[39:40]
	s_waitcnt lgkmcnt(2)
	v_mul_f64 v[160:161], v[150:151], v[31:32]
	v_mul_f64 v[31:32], v[148:149], v[31:32]
	s_movk_i32 s0, 0x1df
	v_cmp_lt_u32_e64 s[0:1], s0, v116
	s_movk_i32 s4, 0x3000
	v_fma_f64 v[22:23], v[140:141], v[37:38], v[22:23]
	s_waitcnt lgkmcnt(1)
	v_mul_f64 v[140:141], v[154:155], v[35:36]
	v_mul_f64 v[35:36], v[152:153], v[35:36]
	v_fma_f64 v[148:149], v[148:149], v[29:30], v[160:161]
	v_fma_f64 v[150:151], v[150:151], v[29:30], -v[31:32]
	ds_read_b128 v[29:32], v122 offset:38912
	s_waitcnt vmcnt(10) lgkmcnt(1)
	v_mul_f64 v[160:161], v[158:159], v[55:56]
	v_mul_f64 v[55:56], v[156:157], v[55:56]
	v_fma_f64 v[142:143], v[142:143], v[37:38], -v[39:40]
	v_fma_f64 v[140:141], v[152:153], v[33:34], v[140:141]
	v_fma_f64 v[152:153], v[154:155], v[33:34], -v[35:36]
	ds_read_b128 v[33:36], v122 offset:40960
	ds_read_b128 v[37:40], v122 offset:43008
	s_waitcnt lgkmcnt(2)
	v_mul_f64 v[154:155], v[31:32], v[51:52]
	v_mul_f64 v[51:52], v[29:30], v[51:52]
	v_fma_f64 v[156:157], v[156:157], v[53:54], v[160:161]
	s_waitcnt vmcnt(9) lgkmcnt(1)
	v_mul_f64 v[160:161], v[35:36], v[59:60]
	v_mul_f64 v[59:60], v[33:34], v[59:60]
	s_waitcnt vmcnt(8) lgkmcnt(0)
	v_mul_f64 v[162:163], v[39:40], v[63:64]
	v_fma_f64 v[158:159], v[158:159], v[53:54], -v[55:56]
	v_mul_f64 v[53:54], v[37:38], v[63:64]
	v_fma_f64 v[164:165], v[29:30], v[49:50], v[154:155]
	v_fma_f64 v[166:167], v[31:32], v[49:50], -v[51:52]
	ds_read_b128 v[29:32], v122 offset:45056
	v_fma_f64 v[160:161], v[33:34], v[57:58], v[160:161]
	v_fma_f64 v[168:169], v[35:36], v[57:58], -v[59:60]
	ds_read_b128 v[33:36], v122 offset:47104
	v_fma_f64 v[162:163], v[37:38], v[61:62], v[162:163]
	s_waitcnt vmcnt(7) lgkmcnt(1)
	v_mul_f64 v[55:56], v[31:32], v[67:68]
	v_fma_f64 v[170:171], v[39:40], v[61:62], -v[53:54]
	ds_read_b128 v[37:40], v122 offset:49152
	ds_read_b128 v[49:52], v122 offset:51200
	v_mul_f64 v[53:54], v[29:30], v[67:68]
	s_waitcnt vmcnt(6) lgkmcnt(2)
	v_mul_f64 v[57:58], v[35:36], v[71:72]
	v_mul_f64 v[59:60], v[33:34], v[71:72]
	s_waitcnt vmcnt(5) lgkmcnt(1)
	v_mul_f64 v[61:62], v[39:40], v[75:76]
	v_fma_f64 v[172:173], v[29:30], v[65:66], v[55:56]
	v_mul_f64 v[55:56], v[37:38], v[75:76]
	s_waitcnt vmcnt(4) lgkmcnt(0)
	v_mul_f64 v[63:64], v[51:52], v[79:80]
	v_mul_f64 v[67:68], v[49:50], v[79:80]
	v_fma_f64 v[174:175], v[31:32], v[65:66], -v[53:54]
	ds_read_b128 v[29:32], v122 offset:53248
	v_fma_f64 v[176:177], v[33:34], v[69:70], v[57:58]
	v_fma_f64 v[178:179], v[35:36], v[69:70], -v[59:60]
	ds_read_b128 v[33:36], v122 offset:55296
	v_fma_f64 v[180:181], v[37:38], v[73:74], v[61:62]
	v_fma_f64 v[182:183], v[39:40], v[73:74], -v[55:56]
	s_waitcnt vmcnt(3) lgkmcnt(1)
	v_mul_f64 v[53:54], v[31:32], v[126:127]
	ds_read_b128 v[37:40], v122 offset:57344
	v_fma_f64 v[184:185], v[49:50], v[77:78], v[63:64]
	v_fma_f64 v[186:187], v[51:52], v[77:78], -v[67:68]
	ds_read_b128 v[49:52], v122 offset:59392
	v_mul_f64 v[55:56], v[29:30], v[126:127]
	s_waitcnt vmcnt(2) lgkmcnt(2)
	v_mul_f64 v[57:58], v[35:36], v[130:131]
	s_waitcnt vmcnt(1) lgkmcnt(1)
	v_mul_f64 v[61:62], v[39:40], v[134:135]
	v_mul_f64 v[63:64], v[37:38], v[134:135]
	;; [unrolled: 1-line block ×3, first 2 shown]
	v_fma_f64 v[188:189], v[29:30], v[124:125], v[53:54]
	v_fma_f64 v[190:191], v[31:32], v[124:125], -v[55:56]
	ds_read_b128 v[29:32], v89
	v_fma_f64 v[192:193], v[33:34], v[128:129], v[57:58]
	v_fma_f64 v[196:197], v[37:38], v[132:133], v[61:62]
	s_waitcnt vmcnt(0) lgkmcnt(1)
	v_mul_f64 v[65:66], v[51:52], v[138:139]
	v_mul_f64 v[53:54], v[49:50], v[138:139]
	v_fma_f64 v[198:199], v[39:40], v[132:133], -v[63:64]
	ds_read_b128 v[37:40], v88
	v_fma_f64 v[194:195], v[35:36], v[128:129], -v[59:60]
	v_add_f64 v[33:34], v[144:145], -v[22:23]
	v_add_f64 v[35:36], v[146:147], -v[142:143]
	ds_read_b128 v[61:64], v82
	v_fma_f64 v[200:201], v[49:50], v[136:137], v[65:66]
	v_fma_f64 v[202:203], v[51:52], v[136:137], -v[53:54]
	s_waitcnt lgkmcnt(2)
	v_add_f64 v[49:50], v[29:30], -v[148:149]
	v_add_f64 v[51:52], v[31:32], -v[150:151]
	s_waitcnt lgkmcnt(1)
	v_add_f64 v[57:58], v[37:38], -v[140:141]
	v_add_f64 v[59:60], v[39:40], -v[152:153]
	v_fma_f64 v[69:70], v[144:145], 2.0, -v[33:34]
	v_fma_f64 v[71:72], v[146:147], 2.0, -v[35:36]
	ds_read_b128 v[53:56], v83
	ds_read_b128 v[73:76], v48
	;; [unrolled: 1-line block ×11, first 2 shown]
	v_fma_f64 v[29:30], v[29:30], 2.0, -v[49:50]
	v_fma_f64 v[31:32], v[31:32], 2.0, -v[51:52]
	;; [unrolled: 1-line block ×4, first 2 shown]
	s_waitcnt lgkmcnt(10)
	v_add_f64 v[65:66], v[53:54], -v[156:157]
	v_add_f64 v[67:68], v[55:56], -v[158:159]
	s_waitcnt lgkmcnt(0)
	s_barrier
	ds_write_b128 v122, v[69:72]
	ds_write_b128 v122, v[33:36] offset:7680
	ds_write_b128 v89, v[29:32]
	ds_write_b128 v89, v[49:52] offset:7680
	;; [unrolled: 2-line block ×3, first 2 shown]
	v_add_f64 v[29:30], v[61:62], -v[164:165]
	v_add_f64 v[31:32], v[63:64], -v[166:167]
	;; [unrolled: 1-line block ×4, first 2 shown]
	v_fma_f64 v[53:54], v[53:54], 2.0, -v[65:66]
	v_fma_f64 v[55:56], v[55:56], 2.0, -v[67:68]
	v_add_f64 v[49:50], v[73:74], -v[162:163]
	v_add_f64 v[51:52], v[75:76], -v[170:171]
	v_fma_f64 v[37:38], v[61:62], 2.0, -v[29:30]
	v_fma_f64 v[39:40], v[63:64], 2.0, -v[31:32]
	;; [unrolled: 1-line block ×4, first 2 shown]
	v_mov_b32_e32 v22, 0x3c00
	v_cndmask_b32_e64 v22, 0, v22, s[0:1]
	v_add3_u32 v3, 0, v22, v3
	ds_write_b128 v3, v[53:56]
	v_add_f64 v[53:54], v[77:78], -v[172:173]
	v_add_f64 v[55:56], v[79:80], -v[174:175]
	ds_write_b128 v3, v[65:68] offset:7680
	ds_write_b128 v122, v[37:40] offset:15872
	;; [unrolled: 1-line block ×4, first 2 shown]
	v_add_f64 v[29:30], v[124:125], -v[176:177]
	v_add_f64 v[31:32], v[126:127], -v[178:179]
	v_fma_f64 v[61:62], v[73:74], 2.0, -v[49:50]
	v_fma_f64 v[63:64], v[75:76], 2.0, -v[51:52]
	;; [unrolled: 1-line block ×4, first 2 shown]
	v_add_f64 v[37:38], v[128:129], -v[180:181]
	v_add_f64 v[39:40], v[130:131], -v[182:183]
	ds_write_b128 v122, v[33:36] offset:25600
	ds_write_b128 v122, v[61:64] offset:19968
	;; [unrolled: 1-line block ×3, first 2 shown]
	v_fma_f64 v[33:34], v[124:125], 2.0, -v[29:30]
	v_fma_f64 v[35:36], v[126:127], 2.0, -v[31:32]
	v_add_f64 v[49:50], v[136:137], -v[184:185]
	v_add_f64 v[51:52], v[138:139], -v[186:187]
	s_movk_i32 s0, 0x3c00
	v_mul_u32_u24_sdwa v3, v8, s0 dst_sel:DWORD dst_unused:UNUSED_PAD src0_sel:BYTE_3 src1_sel:DWORD
	v_add3_u32 v3, 0, v3, v20
	ds_write_b128 v3, v[65:68]
	ds_write_b128 v3, v[53:56] offset:7680
	v_add_u32_e32 v3, 0, v17
	v_fma_f64 v[53:54], v[128:129], 2.0, -v[37:38]
	v_fma_f64 v[55:56], v[130:131], 2.0, -v[39:40]
	ds_write_b128 v3, v[33:36] offset:30720
	v_fma_f64 v[33:34], v[136:137], 2.0, -v[49:50]
	v_fma_f64 v[35:36], v[138:139], 2.0, -v[51:52]
	ds_write_b128 v3, v[29:32] offset:38400
	v_add_f64 v[29:30], v[140:141], -v[188:189]
	v_add_f64 v[31:32], v[142:143], -v[190:191]
	v_add_u32_e32 v3, 0, v19
	ds_write_b128 v3, v[53:56] offset:30720
	ds_write_b128 v3, v[37:40] offset:38400
	v_add_u32_e32 v3, 0, v18
	ds_write_b128 v3, v[33:36] offset:30720
	ds_write_b128 v3, v[49:52] offset:38400
	v_add_f64 v[33:34], v[144:145], -v[192:193]
	v_add_f64 v[35:36], v[146:147], -v[194:195]
	v_fma_f64 v[17:18], v[140:141], 2.0, -v[29:30]
	v_fma_f64 v[19:20], v[142:143], 2.0, -v[31:32]
	v_mul_u32_u24_sdwa v3, v9, s0 dst_sel:DWORD dst_unused:UNUSED_PAD src0_sel:BYTE_3 src1_sel:DWORD
	v_add_f64 v[37:38], v[148:149], -v[196:197]
	v_add_f64 v[39:40], v[150:151], -v[198:199]
	v_add3_u32 v3, 0, v3, v21
	v_add_f64 v[21:22], v[152:153], -v[200:201]
	v_add_f64 v[23:24], v[154:155], -v[202:203]
	v_fma_f64 v[49:50], v[144:145], 2.0, -v[33:34]
	v_fma_f64 v[51:52], v[146:147], 2.0, -v[35:36]
	ds_write_b128 v3, v[17:20]
	v_fma_f64 v[17:18], v[148:149], 2.0, -v[37:38]
	v_fma_f64 v[19:20], v[150:151], 2.0, -v[39:40]
	ds_write_b128 v3, v[29:32] offset:7680
	v_fma_f64 v[29:30], v[152:153], 2.0, -v[21:22]
	v_fma_f64 v[31:32], v[154:155], 2.0, -v[23:24]
	v_add_co_u32_e64 v73, s[0:1], s4, v5
	v_add_u32_e32 v3, 0, v12
	v_addc_co_u32_e64 v74, s[0:1], 0, v6, s[0:1]
	ds_write_b128 v3, v[49:52] offset:46080
	ds_write_b128 v3, v[33:36] offset:53760
	v_add_u32_e32 v3, 0, v11
	v_add_co_u32_e64 v8, s[0:1], s4, v28
	ds_write_b128 v3, v[17:20] offset:46080
	ds_write_b128 v3, v[37:40] offset:53760
	v_add_u32_e32 v3, 0, v10
	v_addc_co_u32_e64 v9, s[0:1], 0, v27, s[0:1]
	ds_write_b128 v3, v[29:32] offset:46080
	ds_write_b128 v3, v[21:24] offset:53760
	v_add_co_u32_e64 v10, s[0:1], s4, v25
	v_lshlrev_b64 v[23:24], 4, v[116:117]
	v_addc_co_u32_e64 v11, s[0:1], 0, v26, s[0:1]
	v_add_co_u32_e64 v30, s[0:1], s12, v23
	v_addc_co_u32_e64 v31, s[0:1], v7, v24, s[0:1]
	s_waitcnt lgkmcnt(0)
	s_barrier
	global_load_dwordx4 v[32:35], v[8:9], off offset:2912
	global_load_dwordx4 v[36:39], v[10:11], off offset:2912
	v_add_co_u32_e64 v8, s[0:1], s4, v30
	v_lshlrev_b64 v[21:22], 4, v[118:119]
	v_addc_co_u32_e64 v9, s[0:1], 0, v31, s[0:1]
	v_add_co_u32_e64 v10, s[0:1], s12, v21
	v_addc_co_u32_e64 v11, s[0:1], v7, v22, s[0:1]
	v_add_co_u32_e64 v17, s[0:1], s4, v10
	v_lshlrev_b64 v[19:20], 4, v[114:115]
	v_addc_co_u32_e64 v18, s[0:1], 0, v11, s[0:1]
	v_add_co_u32_e64 v12, s[0:1], s12, v19
	v_addc_co_u32_e64 v29, s[0:1], v7, v20, s[0:1]
	global_load_dwordx4 v[49:52], v[8:9], off offset:2912
	global_load_dwordx4 v[53:56], v[17:18], off offset:2912
	v_add_co_u32_e64 v65, s[0:1], s4, v12
	v_lshlrev_b64 v[17:18], 4, v[120:121]
	v_addc_co_u32_e64 v66, s[0:1], 0, v29, s[0:1]
	v_add_co_u32_e64 v8, s[0:1], s12, v17
	v_addc_co_u32_e64 v9, s[0:1], v7, v18, s[0:1]
	v_add_co_u32_e64 v67, s[0:1], s4, v8
	v_addc_co_u32_e64 v68, s[0:1], 0, v9, s[0:1]
	s_movk_i32 s0, 0x3c0
	v_add_u32_e32 v3, 0xfffffc40, v104
	v_cmp_gt_u32_e64 s[0:1], s0, v104
	v_cndmask_b32_e64 v3, v3, v104, s[0:1]
	global_load_dwordx4 v[57:60], v[65:66], off offset:2912
	global_load_dwordx4 v[61:64], v[67:68], off offset:2912
	v_lshlrev_b64 v[65:66], 4, v[3:4]
	v_add_u32_e32 v132, 0x340, v0
	v_add_co_u32_e64 v40, s[0:1], s12, v65
	v_addc_co_u32_e64 v65, s[0:1], v7, v66, s[0:1]
	v_add_co_u32_e64 v114, s[0:1], s4, v40
	v_addc_co_u32_e64 v115, s[0:1], 0, v65, s[0:1]
	global_load_dwordx4 v[65:68], v[73:74], off offset:2912
	global_load_dwordx4 v[69:72], v[73:74], off offset:3936
	s_movk_i32 s0, 0x4000
	v_add_co_u32_e64 v116, s[0:1], s0, v5
	v_addc_co_u32_e64 v117, s[0:1], 0, v6, s[0:1]
	global_load_dwordx4 v[73:76], v[114:115], off offset:2912
	global_load_dwordx4 v[77:80], v[116:117], off offset:1888
	v_add_u32_e32 v114, 0x140, v0
	v_mov_b32_e32 v115, v4
	v_lshlrev_b64 v[114:115], 4, v[114:115]
	v_mov_b32_e32 v133, v4
	v_add_co_u32_e64 v40, s[0:1], s12, v114
	v_addc_co_u32_e64 v81, s[0:1], v7, v115, s[0:1]
	v_add_u32_e32 v114, 0x1c0, v0
	v_mov_b32_e32 v115, v4
	v_add_co_u32_e64 v124, s[0:1], s4, v40
	v_lshlrev_b64 v[114:115], 4, v[114:115]
	v_addc_co_u32_e64 v125, s[0:1], 0, v81, s[0:1]
	v_add_co_u32_e64 v40, s[0:1], s12, v114
	v_addc_co_u32_e64 v81, s[0:1], v7, v115, s[0:1]
	v_add_co_u32_e64 v126, s[0:1], s4, v40
	v_addc_co_u32_e64 v127, s[0:1], 0, v81, s[0:1]
	global_load_dwordx4 v[114:117], v[124:125], off offset:2912
	global_load_dwordx4 v[118:121], v[126:127], off offset:2912
	v_add_u32_e32 v124, 0x240, v0
	v_mov_b32_e32 v125, v4
	v_lshlrev_b64 v[124:125], 4, v[124:125]
	v_add_u32_e32 v126, 0x2c0, v0
	v_add_co_u32_e64 v40, s[0:1], s12, v124
	v_addc_co_u32_e64 v81, s[0:1], v7, v125, s[0:1]
	v_mov_b32_e32 v127, v4
	v_add_co_u32_e64 v124, s[0:1], s4, v40
	v_lshlrev_b64 v[126:127], 4, v[126:127]
	v_addc_co_u32_e64 v125, s[0:1], 0, v81, s[0:1]
	v_add_co_u32_e64 v40, s[0:1], s12, v126
	v_addc_co_u32_e64 v81, s[0:1], v7, v127, s[0:1]
	v_add_co_u32_e64 v128, s[0:1], s4, v40
	v_lshlrev_b64 v[132:133], 4, v[132:133]
	v_addc_co_u32_e64 v129, s[0:1], 0, v81, s[0:1]
	v_add_co_u32_e64 v4, s[0:1], s12, v132
	v_addc_co_u32_e64 v40, s[0:1], v7, v133, s[0:1]
	global_load_dwordx4 v[124:127], v[124:125], off offset:2912
	s_nop 0
	global_load_dwordx4 v[128:131], v[128:129], off offset:2912
	v_add_co_u32_e64 v132, s[0:1], s4, v4
	v_addc_co_u32_e64 v133, s[0:1], 0, v40, s[0:1]
	global_load_dwordx4 v[132:135], v[132:133], off offset:2912
	ds_read_b128 v[136:139], v122 offset:30720
	ds_read_b128 v[140:143], v122
	ds_read_b128 v[144:147], v122 offset:32768
	ds_read_b128 v[148:151], v122 offset:34816
	s_movk_i32 s0, 0x3bf
	v_mov_b32_e32 v4, 0x7800
	v_cmp_lt_u32_e64 s[0:1], s0, v104
	s_waitcnt vmcnt(14) lgkmcnt(1)
	v_mul_f64 v[156:157], v[146:147], v[34:35]
	v_mul_f64 v[34:35], v[144:145], v[34:35]
	s_waitcnt vmcnt(13) lgkmcnt(0)
	v_mul_f64 v[158:159], v[150:151], v[38:39]
	v_mul_f64 v[38:39], v[148:149], v[38:39]
	v_lshlrev_b32_e32 v3, 4, v3
	v_cndmask_b32_e64 v4, 0, v4, s[0:1]
	v_add3_u32 v3, 0, v4, v3
	s_movk_i32 s4, 0x7000
	v_fma_f64 v[144:145], v[144:145], v[32:33], v[156:157]
	s_waitcnt vmcnt(8)
	v_mul_f64 v[152:153], v[138:139], v[67:68]
	v_mul_f64 v[67:68], v[136:137], v[67:68]
	v_fma_f64 v[146:147], v[146:147], v[32:33], -v[34:35]
	ds_read_b128 v[32:35], v122 offset:38912
	v_fma_f64 v[148:149], v[148:149], v[36:37], v[158:159]
	v_fma_f64 v[150:151], v[150:151], v[36:37], -v[38:39]
	ds_read_b128 v[36:39], v122 offset:40960
	v_fma_f64 v[136:137], v[136:137], v[65:66], v[152:153]
	ds_read_b128 v[152:155], v122 offset:36864
	v_fma_f64 v[138:139], v[138:139], v[65:66], -v[67:68]
	s_waitcnt lgkmcnt(2)
	v_mul_f64 v[158:159], v[34:35], v[55:56]
	ds_read_b128 v[65:68], v122 offset:43008
	v_mul_f64 v[55:56], v[32:33], v[55:56]
	s_waitcnt lgkmcnt(1)
	v_mul_f64 v[156:157], v[154:155], v[51:52]
	v_mul_f64 v[51:52], v[152:153], v[51:52]
	s_waitcnt lgkmcnt(0)
	v_mul_f64 v[160:161], v[67:68], v[63:64]
	v_fma_f64 v[158:159], v[32:33], v[53:54], v[158:159]
	v_fma_f64 v[162:163], v[34:35], v[53:54], -v[55:56]
	v_fma_f64 v[152:153], v[152:153], v[49:50], v[156:157]
	v_mul_f64 v[156:157], v[38:39], v[59:60]
	v_mul_f64 v[59:60], v[36:37], v[59:60]
	v_fma_f64 v[154:155], v[154:155], v[49:50], -v[51:52]
	v_mul_f64 v[49:50], v[65:66], v[63:64]
	ds_read_b128 v[32:35], v122 offset:45056
	ds_read_b128 v[53:56], v122 offset:51200
	v_fma_f64 v[160:161], v[65:66], v[61:62], v[160:161]
	v_fma_f64 v[156:157], v[36:37], v[57:58], v[156:157]
	v_fma_f64 v[164:165], v[38:39], v[57:58], -v[59:60]
	ds_read_b128 v[36:39], v122 offset:47104
	v_fma_f64 v[166:167], v[67:68], v[61:62], -v[49:50]
	ds_read_b128 v[49:52], v122 offset:49152
	s_waitcnt vmcnt(6) lgkmcnt(3)
	v_mul_f64 v[57:58], v[34:35], v[75:76]
	v_mul_f64 v[59:60], v[32:33], v[75:76]
	s_waitcnt vmcnt(5) lgkmcnt(0)
	v_mul_f64 v[65:66], v[51:52], v[79:80]
	v_fma_f64 v[168:169], v[32:33], v[73:74], v[57:58]
	v_mul_f64 v[57:58], v[49:50], v[79:80]
	v_fma_f64 v[170:171], v[34:35], v[73:74], -v[59:60]
	ds_read_b128 v[32:35], v122 offset:53248
	s_waitcnt vmcnt(4)
	v_mul_f64 v[67:68], v[55:56], v[116:117]
	v_fma_f64 v[176:177], v[49:50], v[77:78], v[65:66]
	s_waitcnt vmcnt(3) lgkmcnt(0)
	v_mul_f64 v[59:60], v[32:33], v[120:121]
	v_fma_f64 v[178:179], v[51:52], v[77:78], -v[57:58]
	v_mul_f64 v[57:58], v[34:35], v[120:121]
	ds_read_b128 v[49:52], v122 offset:57344
	v_fma_f64 v[180:181], v[53:54], v[114:115], v[67:68]
	v_fma_f64 v[186:187], v[34:35], v[118:119], -v[59:60]
	s_waitcnt vmcnt(1) lgkmcnt(0)
	v_mul_f64 v[65:66], v[51:52], v[130:131]
	v_fma_f64 v[184:185], v[32:33], v[118:119], v[57:58]
	ds_read_b128 v[32:35], v89
	v_mul_f64 v[61:62], v[38:39], v[71:72]
	v_mul_f64 v[63:64], v[36:37], v[71:72]
	;; [unrolled: 1-line block ×4, first 2 shown]
	v_fma_f64 v[192:193], v[49:50], v[128:129], v[65:66]
	v_fma_f64 v[172:173], v[36:37], v[69:70], v[61:62]
	v_fma_f64 v[174:175], v[38:39], v[69:70], -v[63:64]
	ds_read_b128 v[36:39], v122 offset:55296
	v_fma_f64 v[182:183], v[55:56], v[114:115], -v[71:72]
	ds_read_b128 v[53:56], v122 offset:59392
	v_fma_f64 v[194:195], v[51:52], v[128:129], -v[67:68]
	ds_read_b128 v[49:52], v88
	ds_read_b128 v[114:117], v87
	s_waitcnt lgkmcnt(3)
	v_mul_f64 v[61:62], v[38:39], v[126:127]
	v_mul_f64 v[63:64], v[36:37], v[126:127]
	s_waitcnt vmcnt(0) lgkmcnt(2)
	v_mul_f64 v[57:58], v[53:54], v[134:135]
	v_mul_f64 v[69:70], v[55:56], v[134:135]
	ds_read_b128 v[65:68], v82
	s_waitcnt lgkmcnt(1)
	v_add_f64 v[134:135], v[116:117], -v[164:165]
	v_fma_f64 v[188:189], v[36:37], v[124:125], v[61:62]
	v_fma_f64 v[190:191], v[38:39], v[124:125], -v[63:64]
	v_add_f64 v[36:37], v[140:141], -v[136:137]
	v_add_f64 v[38:39], v[142:143], -v[138:139]
	v_fma_f64 v[198:199], v[55:56], v[132:133], -v[57:58]
	ds_read_b128 v[57:60], v83
	v_fma_f64 v[196:197], v[53:54], v[132:133], v[69:70]
	v_add_f64 v[53:54], v[32:33], -v[144:145]
	v_add_f64 v[55:56], v[34:35], -v[146:147]
	;; [unrolled: 1-line block ×4, first 2 shown]
	ds_read_b128 v[118:121], v48
	ds_read_b128 v[124:127], v47
	;; [unrolled: 1-line block ×3, first 2 shown]
	s_waitcnt lgkmcnt(3)
	v_add_f64 v[69:70], v[57:58], -v[152:153]
	v_add_f64 v[71:72], v[59:60], -v[154:155]
	v_fma_f64 v[73:74], v[140:141], 2.0, -v[36:37]
	v_fma_f64 v[75:76], v[142:143], 2.0, -v[38:39]
	v_add_f64 v[77:78], v[65:66], -v[158:159]
	v_add_f64 v[79:80], v[67:68], -v[162:163]
	;; [unrolled: 1-line block ×3, first 2 shown]
	s_waitcnt lgkmcnt(2)
	v_add_f64 v[136:137], v[118:119], -v[160:161]
	v_add_f64 v[138:139], v[120:121], -v[166:167]
	v_fma_f64 v[32:33], v[32:33], 2.0, -v[53:54]
	v_fma_f64 v[34:35], v[34:35], 2.0, -v[55:56]
	;; [unrolled: 1-line block ×6, first 2 shown]
	s_waitcnt lgkmcnt(1)
	v_add_f64 v[140:141], v[124:125], -v[168:169]
	v_add_f64 v[142:143], v[126:127], -v[170:171]
	v_fma_f64 v[65:66], v[65:66], 2.0, -v[77:78]
	v_fma_f64 v[67:68], v[67:68], 2.0, -v[79:80]
	;; [unrolled: 1-line block ×6, first 2 shown]
	ds_read_b128 v[144:147], v46
	ds_read_b128 v[148:151], v45
	ds_read_b128 v[152:155], v44
	ds_read_b128 v[156:159], v43
	ds_read_b128 v[160:163], v42
	ds_read_b128 v[164:167], v41
	s_waitcnt lgkmcnt(0)
	s_barrier
	ds_write_b128 v122, v[73:76]
	ds_write_b128 v122, v[36:39] offset:15360
	ds_write_b128 v89, v[32:35]
	ds_write_b128 v89, v[53:56] offset:15360
	;; [unrolled: 2-line block ×7, first 2 shown]
	v_add_f64 v[32:33], v[144:145], -v[172:173]
	v_add_f64 v[34:35], v[146:147], -v[174:175]
	;; [unrolled: 1-line block ×6, first 2 shown]
	v_fma_f64 v[124:125], v[124:125], 2.0, -v[140:141]
	v_fma_f64 v[126:127], v[126:127], 2.0, -v[142:143]
	v_add_f64 v[65:66], v[152:153], -v[184:185]
	v_add_f64 v[67:68], v[154:155], -v[186:187]
	v_fma_f64 v[53:54], v[144:145], 2.0, -v[32:33]
	v_fma_f64 v[55:56], v[146:147], 2.0, -v[34:35]
	v_add_f64 v[69:70], v[156:157], -v[188:189]
	v_add_f64 v[71:72], v[158:159], -v[190:191]
	v_add_f64 v[73:74], v[160:161], -v[192:193]
	v_add_f64 v[75:76], v[162:163], -v[194:195]
	v_add_f64 v[77:78], v[164:165], -v[196:197]
	v_add_f64 v[79:80], v[166:167], -v[198:199]
	v_fma_f64 v[57:58], v[148:149], 2.0, -v[36:37]
	v_fma_f64 v[59:60], v[150:151], 2.0, -v[38:39]
	;; [unrolled: 1-line block ×4, first 2 shown]
	ds_write_b128 v3, v[124:127]
	ds_write_b128 v3, v[140:143] offset:15360
	v_fma_f64 v[114:115], v[152:153], 2.0, -v[65:66]
	v_fma_f64 v[116:117], v[154:155], 2.0, -v[67:68]
	v_add_co_u32_e64 v3, s[0:1], s4, v5
	v_addc_co_u32_e64 v4, s[0:1], 0, v6, s[0:1]
	v_fma_f64 v[118:119], v[156:157], 2.0, -v[69:70]
	v_fma_f64 v[120:121], v[158:159], 2.0, -v[71:72]
	;; [unrolled: 1-line block ×6, first 2 shown]
	ds_write_b128 v122, v[53:56] offset:31744
	ds_write_b128 v122, v[32:35] offset:47104
	;; [unrolled: 1-line block ×14, first 2 shown]
	v_add_co_u32_e64 v32, s[0:1], s4, v28
	s_waitcnt lgkmcnt(0)
	s_barrier
	v_addc_co_u32_e64 v33, s[0:1], 0, v27, s[0:1]
	global_load_dwordx4 v[3:6], v[3:4], off offset:1888
	s_nop 0
	global_load_dwordx4 v[49:52], v[32:33], off offset:1888
	v_add_co_u32_e64 v25, s[0:1], s4, v25
	v_addc_co_u32_e64 v26, s[0:1], 0, v26, s[0:1]
	v_add_co_u32_e64 v27, s[0:1], s4, v30
	v_addc_co_u32_e64 v28, s[0:1], 0, v31, s[0:1]
	global_load_dwordx4 v[53:56], v[25:26], off offset:1888
	global_load_dwordx4 v[57:60], v[27:28], off offset:1888
	v_add_co_u32_e64 v10, s[0:1], s4, v10
	v_addc_co_u32_e64 v11, s[0:1], 0, v11, s[0:1]
	v_add_co_u32_e64 v25, s[0:1], s4, v12
	v_addc_co_u32_e64 v26, s[0:1], 0, v29, s[0:1]
	global_load_dwordx4 v[61:64], v[10:11], off offset:1888
	global_load_dwordx4 v[65:68], v[25:26], off offset:1888
	v_add_co_u32_e64 v25, s[0:1], s4, v8
	v_lshlrev_b64 v[39:40], 4, v[104:105]
	v_addc_co_u32_e64 v26, s[0:1], 0, v9, s[0:1]
	v_add_co_u32_e64 v8, s[0:1], s12, v39
	v_addc_co_u32_e64 v9, s[0:1], v7, v40, s[0:1]
	v_add_co_u32_e64 v27, s[0:1], s4, v8
	v_lshlrev_b64 v[37:38], 4, v[100:101]
	v_addc_co_u32_e64 v28, s[0:1], 0, v9, s[0:1]
	global_load_dwordx4 v[8:11], v[25:26], off offset:1888
	global_load_dwordx4 v[69:72], v[27:28], off offset:1888
	v_add_co_u32_e64 v12, s[0:1], s12, v37
	v_addc_co_u32_e64 v26, s[0:1], v7, v38, s[0:1]
	v_add_co_u32_e64 v25, s[0:1], s4, v12
	v_lshlrev_b64 v[35:36], 4, v[98:99]
	v_addc_co_u32_e64 v26, s[0:1], 0, v26, s[0:1]
	v_add_co_u32_e64 v12, s[0:1], s12, v35
	v_addc_co_u32_e64 v28, s[0:1], v7, v36, s[0:1]
	v_add_co_u32_e64 v27, s[0:1], s4, v12
	v_lshlrev_b64 v[33:34], 4, v[112:113]
	v_addc_co_u32_e64 v28, s[0:1], 0, v28, s[0:1]
	global_load_dwordx4 v[73:76], v[25:26], off offset:1888
	global_load_dwordx4 v[77:80], v[27:28], off offset:1888
	v_add_co_u32_e64 v12, s[0:1], s12, v33
	v_addc_co_u32_e64 v26, s[0:1], v7, v34, s[0:1]
	v_add_co_u32_e64 v25, s[0:1], s4, v12
	v_lshlrev_b64 v[31:32], 4, v[110:111]
	v_addc_co_u32_e64 v26, s[0:1], 0, v26, s[0:1]
	v_add_co_u32_e64 v12, s[0:1], s12, v31
	v_addc_co_u32_e64 v28, s[0:1], v7, v32, s[0:1]
	v_add_co_u32_e64 v27, s[0:1], s4, v12
	v_lshlrev_b64 v[29:30], 4, v[108:109]
	v_addc_co_u32_e64 v28, s[0:1], 0, v28, s[0:1]
	v_add_co_u32_e64 v12, s[0:1], s12, v29
	global_load_dwordx4 v[97:100], v[25:26], off offset:1888
	global_load_dwordx4 v[110:113], v[27:28], off offset:1888
	v_addc_co_u32_e64 v26, s[0:1], v7, v30, s[0:1]
	v_add_co_u32_e64 v25, s[0:1], s4, v12
	v_addc_co_u32_e64 v26, s[0:1], 0, v26, s[0:1]
	global_load_dwordx4 v[114:117], v[25:26], off offset:1888
	v_lshlrev_b64 v[27:28], 4, v[102:103]
	v_add_co_u32_e64 v12, s[0:1], s12, v27
	v_addc_co_u32_e64 v26, s[0:1], v7, v28, s[0:1]
	v_add_co_u32_e64 v25, s[0:1], s4, v12
	v_addc_co_u32_e64 v26, s[0:1], 0, v26, s[0:1]
	global_load_dwordx4 v[101:104], v[25:26], off offset:1888
	v_lshlrev_b64 v[25:26], 4, v[106:107]
	v_add_co_u32_e64 v12, s[0:1], s12, v25
	v_addc_co_u32_e64 v7, s[0:1], v7, v26, s[0:1]
	v_add_co_u32_e64 v105, s[0:1], s4, v12
	v_addc_co_u32_e64 v106, s[0:1], 0, v7, s[0:1]
	global_load_dwordx4 v[105:108], v[105:106], off offset:1888
	ds_read_b128 v[118:121], v122 offset:30720
	ds_read_b128 v[124:127], v122
	ds_read_b128 v[128:131], v122 offset:32768
	ds_read_b128 v[132:135], v122 offset:34816
	ds_read_b128 v[136:139], v122 offset:36864
	s_waitcnt vmcnt(14) lgkmcnt(4)
	v_mul_f64 v[140:141], v[120:121], v[5:6]
	v_mul_f64 v[5:6], v[118:119], v[5:6]
	s_waitcnt vmcnt(13) lgkmcnt(2)
	v_mul_f64 v[142:143], v[130:131], v[51:52]
	v_mul_f64 v[51:52], v[128:129], v[51:52]
	;; [unrolled: 3-line block ×3, first 2 shown]
	v_cmp_ne_u32_e64 s[0:1], 0, v0
	v_fma_f64 v[140:141], v[118:119], v[3:4], v[140:141]
	v_fma_f64 v[146:147], v[120:121], v[3:4], -v[5:6]
	ds_read_b128 v[3:6], v122 offset:38912
	s_waitcnt vmcnt(11) lgkmcnt(1)
	v_mul_f64 v[118:119], v[138:139], v[59:60]
	v_mul_f64 v[59:60], v[136:137], v[59:60]
	v_fma_f64 v[128:129], v[128:129], v[49:50], v[142:143]
	v_fma_f64 v[130:131], v[130:131], v[49:50], -v[51:52]
	ds_read_b128 v[49:52], v122 offset:40960
	s_waitcnt vmcnt(10) lgkmcnt(1)
	v_mul_f64 v[120:121], v[5:6], v[63:64]
	v_fma_f64 v[132:133], v[132:133], v[53:54], v[144:145]
	v_fma_f64 v[134:135], v[134:135], v[53:54], -v[55:56]
	ds_read_b128 v[53:56], v122 offset:43008
	v_mul_f64 v[63:64], v[3:4], v[63:64]
	s_waitcnt vmcnt(9) lgkmcnt(1)
	v_mul_f64 v[142:143], v[51:52], v[67:68]
	v_fma_f64 v[136:137], v[136:137], v[57:58], v[118:119]
	v_fma_f64 v[138:139], v[138:139], v[57:58], -v[59:60]
	ds_read_b128 v[57:60], v122 offset:45056
	v_fma_f64 v[144:145], v[3:4], v[61:62], v[120:121]
	v_mul_f64 v[3:4], v[49:50], v[67:68]
	s_waitcnt vmcnt(8) lgkmcnt(1)
	v_mul_f64 v[67:68], v[55:56], v[10:11]
	ds_read_b128 v[118:121], v122 offset:47104
	v_fma_f64 v[148:149], v[5:6], v[61:62], -v[63:64]
	v_fma_f64 v[142:143], v[49:50], v[65:66], v[142:143]
	s_waitcnt vmcnt(7) lgkmcnt(1)
	v_mul_f64 v[49:50], v[59:60], v[71:72]
	v_mul_f64 v[61:62], v[57:58], v[71:72]
	;; [unrolled: 1-line block ×3, first 2 shown]
	v_fma_f64 v[150:151], v[51:52], v[65:66], -v[3:4]
	ds_read_b128 v[3:6], v122 offset:49152
	v_fma_f64 v[152:153], v[53:54], v[8:9], v[67:68]
	s_waitcnt vmcnt(6) lgkmcnt(1)
	v_mul_f64 v[53:54], v[118:119], v[75:76]
	v_mul_f64 v[63:64], v[120:121], v[75:76]
	v_fma_f64 v[154:155], v[57:58], v[69:70], v[49:50]
	v_fma_f64 v[156:157], v[59:60], v[69:70], -v[61:62]
	s_waitcnt vmcnt(5) lgkmcnt(0)
	v_mul_f64 v[57:58], v[5:6], v[79:80]
	v_mul_f64 v[59:60], v[3:4], v[79:80]
	v_fma_f64 v[11:12], v[55:56], v[8:9], -v[10:11]
	ds_read_b128 v[7:10], v122 offset:51200
	ds_read_b128 v[49:52], v122 offset:53248
	v_fma_f64 v[160:161], v[120:121], v[73:74], -v[53:54]
	ds_read_b128 v[53:56], v122 offset:55296
	v_fma_f64 v[158:159], v[118:119], v[73:74], v[63:64]
	v_fma_f64 v[162:163], v[3:4], v[77:78], v[57:58]
	s_waitcnt vmcnt(3) lgkmcnt(1)
	v_mul_f64 v[65:66], v[51:52], v[112:113]
	v_fma_f64 v[164:165], v[5:6], v[77:78], -v[59:60]
	ds_read_b128 v[3:6], v122 offset:57344
	v_mul_f64 v[61:62], v[9:10], v[99:100]
	s_waitcnt vmcnt(2) lgkmcnt(1)
	v_mul_f64 v[67:68], v[53:54], v[116:117]
	v_mul_f64 v[63:64], v[7:8], v[99:100]
	;; [unrolled: 1-line block ×4, first 2 shown]
	v_fma_f64 v[170:171], v[49:50], v[110:111], v[65:66]
	v_fma_f64 v[166:167], v[7:8], v[97:98], v[61:62]
	v_fma_f64 v[176:177], v[55:56], v[114:115], -v[67:68]
	v_fma_f64 v[168:169], v[9:10], v[97:98], -v[63:64]
	;; [unrolled: 1-line block ×3, first 2 shown]
	s_waitcnt vmcnt(1) lgkmcnt(0)
	v_mul_f64 v[65:66], v[5:6], v[103:104]
	v_mul_f64 v[67:68], v[3:4], v[103:104]
	ds_read_b128 v[7:10], v122 offset:59392
	ds_read_b128 v[49:52], v89
	v_fma_f64 v[174:175], v[53:54], v[114:115], v[59:60]
	ds_read_b128 v[57:60], v88
	v_add_f64 v[53:54], v[124:125], -v[140:141]
	v_add_f64 v[55:56], v[126:127], -v[146:147]
	s_waitcnt lgkmcnt(1)
	v_add_f64 v[61:62], v[49:50], -v[128:129]
	v_add_f64 v[63:64], v[51:52], -v[130:131]
	v_fma_f64 v[178:179], v[3:4], v[101:102], v[65:66]
	s_waitcnt vmcnt(0)
	v_mul_f64 v[69:70], v[9:10], v[107:108]
	v_mul_f64 v[71:72], v[7:8], v[107:108]
	v_fma_f64 v[180:181], v[5:6], v[101:102], -v[67:68]
	s_waitcnt lgkmcnt(0)
	v_add_f64 v[101:102], v[57:58], -v[132:133]
	v_add_f64 v[103:104], v[59:60], -v[134:135]
	v_fma_f64 v[3:4], v[124:125], 2.0, -v[53:54]
	v_fma_f64 v[5:6], v[126:127], 2.0, -v[55:56]
	v_fma_f64 v[182:183], v[7:8], v[105:106], v[69:70]
	v_fma_f64 v[184:185], v[9:10], v[105:106], -v[71:72]
	v_fma_f64 v[7:8], v[49:50], 2.0, -v[61:62]
	v_fma_f64 v[9:10], v[51:52], 2.0, -v[63:64]
	v_fma_f64 v[57:58], v[57:58], 2.0, -v[101:102]
	v_fma_f64 v[59:60], v[59:60], 2.0, -v[103:104]
	ds_read_b128 v[49:52], v83
	ds_read_b128 v[65:68], v82
	;; [unrolled: 1-line block ×12, first 2 shown]
	s_waitcnt lgkmcnt(0)
	s_barrier
	ds_write_b128 v122, v[3:6]
	ds_write_b128 v122, v[53:56] offset:30720
	ds_write_b128 v89, v[7:10]
	ds_write_b128 v89, v[61:64] offset:30720
	;; [unrolled: 2-line block ×3, first 2 shown]
	v_add_f64 v[3:4], v[49:50], -v[136:137]
	v_add_f64 v[5:6], v[51:52], -v[138:139]
	v_add_f64 v[7:8], v[65:66], -v[144:145]
	v_add_f64 v[9:10], v[67:68], -v[148:149]
	v_add_f64 v[53:54], v[105:106], -v[142:143]
	v_add_f64 v[55:56], v[107:108], -v[150:151]
	v_add_f64 v[57:58], v[69:70], -v[152:153]
	v_add_f64 v[59:60], v[71:72], -v[11:12]
	v_fma_f64 v[49:50], v[49:50], 2.0, -v[3:4]
	v_fma_f64 v[51:52], v[51:52], 2.0, -v[5:6]
	;; [unrolled: 1-line block ×6, first 2 shown]
	v_add_f64 v[101:102], v[73:74], -v[154:155]
	v_add_f64 v[103:104], v[75:76], -v[156:157]
	;; [unrolled: 1-line block ×16, first 2 shown]
	v_fma_f64 v[69:70], v[69:70], 2.0, -v[57:58]
	v_fma_f64 v[71:72], v[71:72], 2.0, -v[59:60]
	;; [unrolled: 1-line block ×18, first 2 shown]
	ds_write_b128 v83, v[49:52]
	ds_write_b128 v83, v[3:6] offset:30720
	ds_write_b128 v82, v[61:64]
	ds_write_b128 v82, v[7:10] offset:30720
	ds_write_b128 v87, v[65:68]
	ds_write_b128 v87, v[53:56] offset:30720
	ds_write_b128 v48, v[69:72]
	ds_write_b128 v48, v[57:60] offset:30720
	ds_write_b128 v47, v[73:76]
	ds_write_b128 v47, v[101:104] offset:30720
	ds_write_b128 v46, v[77:80]
	ds_write_b128 v46, v[105:108] offset:30720
	ds_write_b128 v45, v[97:100]
	ds_write_b128 v45, v[132:135] offset:30720
	ds_write_b128 v84, v[109:112]
	ds_write_b128 v84, v[136:139] offset:30720
	ds_write_b128 v44, v[113:116]
	ds_write_b128 v44, v[140:143] offset:30720
	ds_write_b128 v43, v[117:120]
	ds_write_b128 v43, v[144:147] offset:30720
	ds_write_b128 v42, v[124:127]
	ds_write_b128 v42, v[148:151] offset:30720
	ds_write_b128 v41, v[128:131]
	ds_write_b128 v41, v[152:155] offset:30720
	s_waitcnt lgkmcnt(0)
	s_barrier
	ds_read_b128 v[9:12], v122
	v_sub_u32_e32 v49, 0, v123
                                        ; implicit-def: $vgpr3_vgpr4
                                        ; implicit-def: $vgpr7_vgpr8
	s_and_saveexec_b64 s[4:5], s[0:1]
	s_xor_b64 s[4:5], exec, s[4:5]
	s_cbranch_execz .LBB0_15
; %bb.14:
	v_mov_b32_e32 v3, s7
	v_add_co_u32_e64 v1, s[0:1], s6, v1
	v_addc_co_u32_e64 v2, s[0:1], v3, v2, s[0:1]
	global_load_dwordx4 v[3:6], v[1:2], off
	ds_read_b128 v[50:53], v49 offset:61440
	s_waitcnt lgkmcnt(0)
	v_add_f64 v[1:2], v[9:10], -v[50:51]
	v_add_f64 v[7:8], v[11:12], v[52:53]
	v_add_f64 v[11:12], v[11:12], -v[52:53]
	v_mul_f64 v[52:53], v[1:2], 0.5
	v_add_f64 v[1:2], v[9:10], v[50:51]
	v_mul_f64 v[9:10], v[7:8], 0.5
	v_mul_f64 v[7:8], v[11:12], 0.5
	s_waitcnt vmcnt(0)
	v_mul_f64 v[11:12], v[52:53], v[5:6]
	v_fma_f64 v[50:51], v[9:10], v[5:6], v[7:8]
	v_fma_f64 v[54:55], v[1:2], 0.5, v[11:12]
	v_fma_f64 v[1:2], v[1:2], 0.5, -v[11:12]
	v_fma_f64 v[11:12], v[9:10], v[5:6], -v[7:8]
	v_fma_f64 v[7:8], -v[3:4], v[52:53], v[50:51]
	v_fma_f64 v[5:6], v[9:10], v[3:4], v[54:55]
	v_fma_f64 v[1:2], -v[9:10], v[3:4], v[1:2]
	v_fma_f64 v[3:4], -v[3:4], v[52:53], v[11:12]
                                        ; implicit-def: $vgpr9_vgpr10
.LBB0_15:
	s_or_saveexec_b64 s[0:1], s[4:5]
	v_mul_i32_i24_e32 v51, 0xffffff70, v96
	v_mul_i32_i24_e32 v50, 0xffffff70, v94
	s_xor_b64 exec, exec, s[0:1]
	s_cbranch_execz .LBB0_17
; %bb.16:
	s_waitcnt lgkmcnt(0)
	v_add_f64 v[5:6], v[9:10], v[11:12]
	v_add_f64 v[1:2], v[9:10], -v[11:12]
	v_mov_b32_e32 v9, 0
	ds_read_b64 v[3:4], v9 offset:30728
	v_mov_b32_e32 v7, 0
	v_mov_b32_e32 v8, 0
	s_waitcnt lgkmcnt(0)
	v_xor_b32_e32 v4, 0x80000000, v4
	ds_write_b64 v9, v[3:4] offset:30728
	v_mov_b32_e32 v3, v7
	v_mov_b32_e32 v4, v8
.LBB0_17:
	s_or_b64 exec, exec, s[0:1]
	s_waitcnt lgkmcnt(0)
	v_mov_b32_e32 v10, s7
	v_add_co_u32_e64 v9, s[0:1], s6, v15
	v_addc_co_u32_e64 v10, s[0:1], v10, v16, s[0:1]
	global_load_dwordx4 v[9:12], v[9:10], off
	v_mov_b32_e32 v15, s7
	v_add_co_u32_e64 v13, s[0:1], s6, v13
	v_addc_co_u32_e64 v14, s[0:1], v15, v14, s[0:1]
	global_load_dwordx4 v[13:16], v[13:14], off
	ds_write_b128 v122, v[5:8]
	ds_write_b128 v49, v[1:4] offset:61440
	v_add_u32_e32 v59, v86, v51
	ds_read_b128 v[1:4], v59
	ds_read_b128 v[5:8], v49 offset:59392
	v_mov_b32_e32 v60, s7
	s_waitcnt lgkmcnt(0)
	v_add_f64 v[51:52], v[1:2], -v[5:6]
	v_add_f64 v[53:54], v[3:4], v[7:8]
	v_add_f64 v[3:4], v[3:4], -v[7:8]
	v_add_f64 v[1:2], v[1:2], v[5:6]
	v_mul_f64 v[51:52], v[51:52], 0.5
	v_mul_f64 v[53:54], v[53:54], 0.5
	v_mul_f64 v[3:4], v[3:4], 0.5
	s_waitcnt vmcnt(1)
	v_mul_f64 v[5:6], v[51:52], v[11:12]
	v_fma_f64 v[7:8], v[53:54], v[11:12], v[3:4]
	v_fma_f64 v[11:12], v[53:54], v[11:12], -v[3:4]
	v_fma_f64 v[55:56], v[1:2], 0.5, v[5:6]
	v_fma_f64 v[57:58], v[1:2], 0.5, -v[5:6]
	v_add_co_u32_e64 v1, s[0:1], s6, v23
	v_addc_co_u32_e64 v2, s[0:1], v60, v24, s[0:1]
	global_load_dwordx4 v[1:4], v[1:2], off
	v_fma_f64 v[7:8], -v[9:10], v[51:52], v[7:8]
	v_fma_f64 v[5:6], v[53:54], v[9:10], v[55:56]
	v_fma_f64 v[11:12], -v[9:10], v[51:52], v[11:12]
	v_fma_f64 v[9:10], -v[53:54], v[9:10], v[57:58]
	v_add_u32_e32 v56, v85, v50
	v_mov_b32_e32 v57, s7
	ds_write_b128 v59, v[5:8]
	ds_write_b128 v49, v[9:12] offset:59392
	ds_read_b128 v[5:8], v56
	ds_read_b128 v[9:12], v49 offset:57344
	s_waitcnt lgkmcnt(0)
	v_add_f64 v[23:24], v[5:6], -v[9:10]
	v_add_f64 v[50:51], v[7:8], v[11:12]
	v_add_f64 v[7:8], v[7:8], -v[11:12]
	v_add_f64 v[5:6], v[5:6], v[9:10]
	v_mul_f64 v[23:24], v[23:24], 0.5
	v_mul_f64 v[50:51], v[50:51], 0.5
	;; [unrolled: 1-line block ×3, first 2 shown]
	s_waitcnt vmcnt(1)
	v_mul_f64 v[9:10], v[23:24], v[15:16]
	v_fma_f64 v[11:12], v[50:51], v[15:16], v[7:8]
	v_fma_f64 v[15:16], v[50:51], v[15:16], -v[7:8]
	v_fma_f64 v[52:53], v[5:6], 0.5, v[9:10]
	v_fma_f64 v[54:55], v[5:6], 0.5, -v[9:10]
	v_add_co_u32_e64 v5, s[0:1], s6, v21
	v_addc_co_u32_e64 v6, s[0:1], v57, v22, s[0:1]
	global_load_dwordx4 v[5:8], v[5:6], off
	v_fma_f64 v[11:12], -v[13:14], v[23:24], v[11:12]
	v_fma_f64 v[9:10], v[50:51], v[13:14], v[52:53]
	v_fma_f64 v[15:16], -v[13:14], v[23:24], v[15:16]
	v_fma_f64 v[13:14], -v[50:51], v[13:14], v[54:55]
	v_mov_b32_e32 v54, s7
	ds_write_b128 v56, v[9:12]
	ds_write_b128 v49, v[13:16] offset:57344
	ds_read_b128 v[9:12], v83
	ds_read_b128 v[13:16], v49 offset:55296
	s_waitcnt lgkmcnt(0)
	v_add_f64 v[21:22], v[9:10], -v[13:14]
	v_add_f64 v[23:24], v[11:12], v[15:16]
	v_add_f64 v[11:12], v[11:12], -v[15:16]
	v_add_f64 v[9:10], v[9:10], v[13:14]
	v_mul_f64 v[21:22], v[21:22], 0.5
	v_mul_f64 v[23:24], v[23:24], 0.5
	;; [unrolled: 1-line block ×3, first 2 shown]
	s_waitcnt vmcnt(1)
	v_mul_f64 v[13:14], v[21:22], v[3:4]
	v_fma_f64 v[15:16], v[23:24], v[3:4], v[11:12]
	v_fma_f64 v[3:4], v[23:24], v[3:4], -v[11:12]
	v_fma_f64 v[50:51], v[9:10], 0.5, v[13:14]
	v_fma_f64 v[52:53], v[9:10], 0.5, -v[13:14]
	v_add_co_u32_e64 v9, s[0:1], s6, v19
	v_addc_co_u32_e64 v10, s[0:1], v54, v20, s[0:1]
	global_load_dwordx4 v[9:12], v[9:10], off
	v_fma_f64 v[15:16], -v[1:2], v[21:22], v[15:16]
	v_fma_f64 v[13:14], v[23:24], v[1:2], v[50:51]
	v_fma_f64 v[3:4], -v[1:2], v[21:22], v[3:4]
	v_fma_f64 v[1:2], -v[23:24], v[1:2], v[52:53]
	ds_write_b128 v83, v[13:16]
	ds_write_b128 v49, v[1:4] offset:55296
	ds_read_b128 v[1:4], v82
	ds_read_b128 v[13:16], v49 offset:53248
	v_mov_b32_e32 v52, s7
	s_waitcnt lgkmcnt(0)
	v_add_f64 v[19:20], v[1:2], -v[13:14]
	v_add_f64 v[21:22], v[3:4], v[15:16]
	v_add_f64 v[3:4], v[3:4], -v[15:16]
	v_add_f64 v[1:2], v[1:2], v[13:14]
	v_mul_f64 v[19:20], v[19:20], 0.5
	v_mul_f64 v[21:22], v[21:22], 0.5
	;; [unrolled: 1-line block ×3, first 2 shown]
	s_waitcnt vmcnt(1)
	v_mul_f64 v[13:14], v[19:20], v[7:8]
	v_fma_f64 v[15:16], v[21:22], v[7:8], v[3:4]
	v_fma_f64 v[7:8], v[21:22], v[7:8], -v[3:4]
	v_fma_f64 v[23:24], v[1:2], 0.5, v[13:14]
	v_fma_f64 v[50:51], v[1:2], 0.5, -v[13:14]
	v_add_co_u32_e64 v1, s[0:1], s6, v17
	v_addc_co_u32_e64 v2, s[0:1], v52, v18, s[0:1]
	global_load_dwordx4 v[1:4], v[1:2], off
	v_fma_f64 v[15:16], -v[5:6], v[19:20], v[15:16]
	v_fma_f64 v[13:14], v[21:22], v[5:6], v[23:24]
	v_fma_f64 v[7:8], -v[5:6], v[19:20], v[7:8]
	v_fma_f64 v[5:6], -v[21:22], v[5:6], v[50:51]
	ds_write_b128 v82, v[13:16]
	ds_write_b128 v49, v[5:8] offset:53248
	ds_read_b128 v[5:8], v87
	ds_read_b128 v[13:16], v49 offset:51200
	v_mov_b32_e32 v50, s7
	s_waitcnt lgkmcnt(0)
	v_add_f64 v[17:18], v[5:6], -v[13:14]
	v_add_f64 v[19:20], v[7:8], v[15:16]
	v_add_f64 v[7:8], v[7:8], -v[15:16]
	v_add_f64 v[5:6], v[5:6], v[13:14]
	v_mul_f64 v[15:16], v[17:18], 0.5
	v_mul_f64 v[19:20], v[19:20], 0.5
	;; [unrolled: 1-line block ×3, first 2 shown]
	s_waitcnt vmcnt(1)
	v_mul_f64 v[13:14], v[15:16], v[11:12]
	v_fma_f64 v[17:18], v[19:20], v[11:12], v[7:8]
	v_fma_f64 v[11:12], v[19:20], v[11:12], -v[7:8]
	v_fma_f64 v[21:22], v[5:6], 0.5, v[13:14]
	v_fma_f64 v[23:24], v[5:6], 0.5, -v[13:14]
	v_add_co_u32_e64 v5, s[0:1], s6, v39
	v_addc_co_u32_e64 v6, s[0:1], v50, v40, s[0:1]
	global_load_dwordx4 v[5:8], v[5:6], off
	v_fma_f64 v[13:14], -v[9:10], v[15:16], v[17:18]
	v_fma_f64 v[17:18], -v[9:10], v[15:16], v[11:12]
	v_fma_f64 v[11:12], v[19:20], v[9:10], v[21:22]
	v_fma_f64 v[15:16], -v[19:20], v[9:10], v[23:24]
	ds_write_b128 v87, v[11:14]
	ds_write_b128 v49, v[15:18] offset:51200
	ds_read_b128 v[9:12], v48
	ds_read_b128 v[13:16], v49 offset:49152
	v_mov_b32_e32 v39, s7
	s_waitcnt lgkmcnt(0)
	v_add_f64 v[17:18], v[9:10], -v[13:14]
	v_add_f64 v[19:20], v[11:12], v[15:16]
	v_add_f64 v[11:12], v[11:12], -v[15:16]
	v_add_f64 v[9:10], v[9:10], v[13:14]
	v_mul_f64 v[17:18], v[17:18], 0.5
	v_mul_f64 v[19:20], v[19:20], 0.5
	;; [unrolled: 1-line block ×3, first 2 shown]
	s_waitcnt vmcnt(1)
	v_mul_f64 v[13:14], v[17:18], v[3:4]
	v_fma_f64 v[15:16], v[19:20], v[3:4], v[11:12]
	v_fma_f64 v[3:4], v[19:20], v[3:4], -v[11:12]
	v_fma_f64 v[21:22], v[9:10], 0.5, v[13:14]
	v_fma_f64 v[23:24], v[9:10], 0.5, -v[13:14]
	v_add_co_u32_e64 v9, s[0:1], s6, v37
	v_addc_co_u32_e64 v10, s[0:1], v39, v38, s[0:1]
	global_load_dwordx4 v[9:12], v[9:10], off
	v_fma_f64 v[15:16], -v[1:2], v[17:18], v[15:16]
	v_fma_f64 v[13:14], v[19:20], v[1:2], v[21:22]
	v_fma_f64 v[3:4], -v[1:2], v[17:18], v[3:4]
	v_fma_f64 v[1:2], -v[19:20], v[1:2], v[23:24]
	ds_write_b128 v48, v[13:16]
	ds_write_b128 v49, v[1:4] offset:49152
	ds_read_b128 v[1:4], v47
	ds_read_b128 v[13:16], v49 offset:47104
	v_mov_b32_e32 v37, s7
	s_waitcnt lgkmcnt(0)
	v_add_f64 v[17:18], v[1:2], -v[13:14]
	v_add_f64 v[19:20], v[3:4], v[15:16]
	v_add_f64 v[3:4], v[3:4], -v[15:16]
	v_add_f64 v[1:2], v[1:2], v[13:14]
	v_mul_f64 v[17:18], v[17:18], 0.5
	v_mul_f64 v[19:20], v[19:20], 0.5
	v_mul_f64 v[3:4], v[3:4], 0.5
	s_waitcnt vmcnt(1)
	v_mul_f64 v[13:14], v[17:18], v[7:8]
	v_fma_f64 v[15:16], v[19:20], v[7:8], v[3:4]
	v_fma_f64 v[7:8], v[19:20], v[7:8], -v[3:4]
	v_fma_f64 v[21:22], v[1:2], 0.5, v[13:14]
	v_fma_f64 v[23:24], v[1:2], 0.5, -v[13:14]
	v_add_co_u32_e64 v1, s[0:1], s6, v35
	v_addc_co_u32_e64 v2, s[0:1], v37, v36, s[0:1]
	global_load_dwordx4 v[1:4], v[1:2], off
	v_fma_f64 v[15:16], -v[5:6], v[17:18], v[15:16]
	v_fma_f64 v[13:14], v[19:20], v[5:6], v[21:22]
	v_fma_f64 v[7:8], -v[5:6], v[17:18], v[7:8]
	v_fma_f64 v[5:6], -v[19:20], v[5:6], v[23:24]
	ds_write_b128 v47, v[13:16]
	ds_write_b128 v49, v[5:8] offset:47104
	ds_read_b128 v[5:8], v46
	ds_read_b128 v[13:16], v49 offset:45056
	v_mov_b32_e32 v35, s7
	s_waitcnt lgkmcnt(0)
	v_add_f64 v[17:18], v[5:6], -v[13:14]
	v_add_f64 v[19:20], v[7:8], v[15:16]
	v_add_f64 v[7:8], v[7:8], -v[15:16]
	v_add_f64 v[5:6], v[5:6], v[13:14]
	v_mul_f64 v[15:16], v[17:18], 0.5
	v_mul_f64 v[19:20], v[19:20], 0.5
	;; [unrolled: 1-line block ×3, first 2 shown]
	s_waitcnt vmcnt(1)
	v_mul_f64 v[13:14], v[15:16], v[11:12]
	v_fma_f64 v[17:18], v[19:20], v[11:12], v[7:8]
	v_fma_f64 v[11:12], v[19:20], v[11:12], -v[7:8]
	v_fma_f64 v[21:22], v[5:6], 0.5, v[13:14]
	v_fma_f64 v[23:24], v[5:6], 0.5, -v[13:14]
	v_add_co_u32_e64 v5, s[0:1], s6, v33
	v_addc_co_u32_e64 v6, s[0:1], v35, v34, s[0:1]
	global_load_dwordx4 v[5:8], v[5:6], off
	v_fma_f64 v[13:14], -v[9:10], v[15:16], v[17:18]
	v_fma_f64 v[17:18], -v[9:10], v[15:16], v[11:12]
	v_fma_f64 v[11:12], v[19:20], v[9:10], v[21:22]
	v_fma_f64 v[15:16], -v[19:20], v[9:10], v[23:24]
	ds_write_b128 v46, v[11:14]
	ds_write_b128 v49, v[15:18] offset:45056
	ds_read_b128 v[9:12], v45
	ds_read_b128 v[13:16], v49 offset:43008
	v_mov_b32_e32 v33, s7
	s_waitcnt lgkmcnt(0)
	v_add_f64 v[17:18], v[9:10], -v[13:14]
	v_add_f64 v[19:20], v[11:12], v[15:16]
	v_add_f64 v[11:12], v[11:12], -v[15:16]
	v_add_f64 v[9:10], v[9:10], v[13:14]
	v_mul_f64 v[17:18], v[17:18], 0.5
	v_mul_f64 v[19:20], v[19:20], 0.5
	;; [unrolled: 1-line block ×3, first 2 shown]
	s_waitcnt vmcnt(1)
	v_mul_f64 v[13:14], v[17:18], v[3:4]
	v_fma_f64 v[15:16], v[19:20], v[3:4], v[11:12]
	v_fma_f64 v[3:4], v[19:20], v[3:4], -v[11:12]
	v_fma_f64 v[21:22], v[9:10], 0.5, v[13:14]
	v_fma_f64 v[23:24], v[9:10], 0.5, -v[13:14]
	v_add_co_u32_e64 v9, s[0:1], s6, v31
	v_addc_co_u32_e64 v10, s[0:1], v33, v32, s[0:1]
	global_load_dwordx4 v[9:12], v[9:10], off
	v_fma_f64 v[15:16], -v[1:2], v[17:18], v[15:16]
	v_fma_f64 v[13:14], v[19:20], v[1:2], v[21:22]
	v_fma_f64 v[3:4], -v[1:2], v[17:18], v[3:4]
	v_fma_f64 v[1:2], -v[19:20], v[1:2], v[23:24]
	ds_write_b128 v45, v[13:16]
	ds_write_b128 v49, v[1:4] offset:43008
	ds_read_b128 v[1:4], v84
	ds_read_b128 v[13:16], v49 offset:40960
	v_mov_b32_e32 v31, s7
	s_waitcnt lgkmcnt(0)
	v_add_f64 v[17:18], v[1:2], -v[13:14]
	v_add_f64 v[19:20], v[3:4], v[15:16]
	v_add_f64 v[3:4], v[3:4], -v[15:16]
	v_add_f64 v[1:2], v[1:2], v[13:14]
	v_mul_f64 v[17:18], v[17:18], 0.5
	v_mul_f64 v[19:20], v[19:20], 0.5
	;; [unrolled: 1-line block ×3, first 2 shown]
	s_waitcnt vmcnt(1)
	v_mul_f64 v[13:14], v[17:18], v[7:8]
	v_fma_f64 v[15:16], v[19:20], v[7:8], v[3:4]
	v_fma_f64 v[7:8], v[19:20], v[7:8], -v[3:4]
	v_fma_f64 v[21:22], v[1:2], 0.5, v[13:14]
	v_fma_f64 v[23:24], v[1:2], 0.5, -v[13:14]
	v_add_co_u32_e64 v1, s[0:1], s6, v29
	v_addc_co_u32_e64 v2, s[0:1], v31, v30, s[0:1]
	global_load_dwordx4 v[1:4], v[1:2], off
	v_fma_f64 v[15:16], -v[5:6], v[17:18], v[15:16]
	v_fma_f64 v[13:14], v[19:20], v[5:6], v[21:22]
	v_fma_f64 v[7:8], -v[5:6], v[17:18], v[7:8]
	v_fma_f64 v[5:6], -v[19:20], v[5:6], v[23:24]
	ds_write_b128 v84, v[13:16]
	ds_write_b128 v49, v[5:8] offset:40960
	ds_read_b128 v[5:8], v44
	ds_read_b128 v[13:16], v49 offset:38912
	v_mov_b32_e32 v29, s7
	s_waitcnt lgkmcnt(0)
	v_add_f64 v[17:18], v[5:6], -v[13:14]
	v_add_f64 v[19:20], v[7:8], v[15:16]
	v_add_f64 v[7:8], v[7:8], -v[15:16]
	v_add_f64 v[5:6], v[5:6], v[13:14]
	v_mul_f64 v[15:16], v[17:18], 0.5
	v_mul_f64 v[19:20], v[19:20], 0.5
	;; [unrolled: 1-line block ×3, first 2 shown]
	s_waitcnt vmcnt(1)
	v_mul_f64 v[13:14], v[15:16], v[11:12]
	v_fma_f64 v[17:18], v[19:20], v[11:12], v[7:8]
	v_fma_f64 v[11:12], v[19:20], v[11:12], -v[7:8]
	v_fma_f64 v[21:22], v[5:6], 0.5, v[13:14]
	v_fma_f64 v[23:24], v[5:6], 0.5, -v[13:14]
	v_add_co_u32_e64 v5, s[0:1], s6, v27
	v_addc_co_u32_e64 v6, s[0:1], v29, v28, s[0:1]
	global_load_dwordx4 v[5:8], v[5:6], off
	v_fma_f64 v[13:14], -v[9:10], v[15:16], v[17:18]
	v_fma_f64 v[17:18], -v[9:10], v[15:16], v[11:12]
	v_fma_f64 v[11:12], v[19:20], v[9:10], v[21:22]
	v_fma_f64 v[15:16], -v[19:20], v[9:10], v[23:24]
	ds_write_b128 v44, v[11:14]
	ds_write_b128 v49, v[15:18] offset:38912
	ds_read_b128 v[9:12], v43
	ds_read_b128 v[13:16], v49 offset:36864
	v_mov_b32_e32 v27, s7
	s_waitcnt lgkmcnt(0)
	v_add_f64 v[17:18], v[9:10], -v[13:14]
	v_add_f64 v[19:20], v[11:12], v[15:16]
	v_add_f64 v[11:12], v[11:12], -v[15:16]
	v_add_f64 v[9:10], v[9:10], v[13:14]
	v_mul_f64 v[17:18], v[17:18], 0.5
	v_mul_f64 v[19:20], v[19:20], 0.5
	;; [unrolled: 1-line block ×3, first 2 shown]
	s_waitcnt vmcnt(1)
	v_mul_f64 v[13:14], v[17:18], v[3:4]
	v_fma_f64 v[15:16], v[19:20], v[3:4], v[11:12]
	v_fma_f64 v[3:4], v[19:20], v[3:4], -v[11:12]
	v_fma_f64 v[21:22], v[9:10], 0.5, v[13:14]
	v_fma_f64 v[23:24], v[9:10], 0.5, -v[13:14]
	v_add_co_u32_e64 v9, s[0:1], s6, v25
	v_addc_co_u32_e64 v10, s[0:1], v27, v26, s[0:1]
	global_load_dwordx4 v[9:12], v[9:10], off
	v_fma_f64 v[15:16], -v[1:2], v[17:18], v[15:16]
	v_fma_f64 v[13:14], v[19:20], v[1:2], v[21:22]
	v_fma_f64 v[3:4], -v[1:2], v[17:18], v[3:4]
	v_fma_f64 v[1:2], -v[19:20], v[1:2], v[23:24]
	ds_write_b128 v43, v[13:16]
	ds_write_b128 v49, v[1:4] offset:36864
	ds_read_b128 v[1:4], v42
	ds_read_b128 v[13:16], v49 offset:34816
	s_waitcnt lgkmcnt(0)
	v_add_f64 v[17:18], v[1:2], -v[13:14]
	v_add_f64 v[19:20], v[3:4], v[15:16]
	v_add_f64 v[3:4], v[3:4], -v[15:16]
	v_add_f64 v[1:2], v[1:2], v[13:14]
	v_mul_f64 v[15:16], v[17:18], 0.5
	v_mul_f64 v[17:18], v[19:20], 0.5
	;; [unrolled: 1-line block ×3, first 2 shown]
	s_waitcnt vmcnt(1)
	v_mul_f64 v[13:14], v[15:16], v[7:8]
	v_fma_f64 v[19:20], v[17:18], v[7:8], v[3:4]
	v_fma_f64 v[7:8], v[17:18], v[7:8], -v[3:4]
	v_fma_f64 v[21:22], v[1:2], 0.5, v[13:14]
	v_fma_f64 v[13:14], v[1:2], 0.5, -v[13:14]
	v_fma_f64 v[3:4], -v[5:6], v[15:16], v[19:20]
	v_fma_f64 v[7:8], -v[5:6], v[15:16], v[7:8]
	v_fma_f64 v[1:2], v[17:18], v[5:6], v[21:22]
	v_fma_f64 v[5:6], -v[17:18], v[5:6], v[13:14]
	ds_write_b128 v42, v[1:4]
	ds_write_b128 v49, v[5:8] offset:34816
	ds_read_b128 v[1:4], v41
	ds_read_b128 v[5:8], v49 offset:32768
	s_waitcnt lgkmcnt(0)
	v_add_f64 v[13:14], v[1:2], -v[5:6]
	v_add_f64 v[15:16], v[3:4], v[7:8]
	v_add_f64 v[3:4], v[3:4], -v[7:8]
	v_add_f64 v[1:2], v[1:2], v[5:6]
	v_mul_f64 v[7:8], v[13:14], 0.5
	v_mul_f64 v[13:14], v[15:16], 0.5
	;; [unrolled: 1-line block ×3, first 2 shown]
	s_waitcnt vmcnt(0)
	v_mul_f64 v[5:6], v[7:8], v[11:12]
	v_fma_f64 v[15:16], v[13:14], v[11:12], v[3:4]
	v_fma_f64 v[11:12], v[13:14], v[11:12], -v[3:4]
	v_fma_f64 v[17:18], v[1:2], 0.5, v[5:6]
	v_fma_f64 v[5:6], v[1:2], 0.5, -v[5:6]
	v_fma_f64 v[3:4], -v[9:10], v[7:8], v[15:16]
	v_fma_f64 v[7:8], -v[9:10], v[7:8], v[11:12]
	v_fma_f64 v[1:2], v[13:14], v[9:10], v[17:18]
	v_fma_f64 v[5:6], -v[13:14], v[9:10], v[5:6]
	ds_write_b128 v41, v[1:4]
	ds_write_b128 v49, v[5:8] offset:32768
	s_waitcnt lgkmcnt(0)
	s_barrier
	s_and_saveexec_b64 s[0:1], vcc
	s_cbranch_execz .LBB0_20
; %bb.18:
	v_mul_lo_u32 v1, s3, v92
	v_mul_lo_u32 v4, s2, v93
	v_mad_u64_u32 v[2:3], s[0:1], s2, v92, 0
	v_mov_b32_e32 v8, s11
	v_lshl_add_u32 v14, v0, 4, 0
	v_add3_u32 v3, v3, v4, v1
	v_lshlrev_b64 v[2:3], 4, v[2:3]
	v_mov_b32_e32 v1, 0
	v_add_co_u32_e32 v2, vcc, s10, v2
	v_addc_co_u32_e32 v10, vcc, v8, v3, vcc
	v_lshlrev_b64 v[8:9], 4, v[90:91]
	ds_read_b128 v[4:7], v14
	v_add_co_u32_e32 v3, vcc, v2, v8
	v_addc_co_u32_e32 v2, vcc, v10, v9, vcc
	v_lshlrev_b64 v[8:9], 4, v[0:1]
	s_movk_i32 s0, 0x7f
	v_add_co_u32_e32 v12, vcc, v3, v8
	v_addc_co_u32_e32 v13, vcc, v2, v9, vcc
	ds_read_b128 v[8:11], v14 offset:2048
	s_waitcnt lgkmcnt(1)
	global_store_dwordx4 v[12:13], v[4:7], off
	s_nop 0
	v_add_u32_e32 v4, 0x80, v0
	v_mov_b32_e32 v5, v1
	v_lshlrev_b64 v[4:5], 4, v[4:5]
	v_add_co_u32_e32 v4, vcc, v3, v4
	v_addc_co_u32_e32 v5, vcc, v2, v5, vcc
	s_waitcnt lgkmcnt(0)
	global_store_dwordx4 v[4:5], v[8:11], off
	ds_read_b128 v[4:7], v14 offset:4096
	v_add_u32_e32 v8, 0x100, v0
	v_mov_b32_e32 v9, v1
	v_lshlrev_b64 v[8:9], 4, v[8:9]
	v_add_co_u32_e32 v12, vcc, v3, v8
	v_addc_co_u32_e32 v13, vcc, v2, v9, vcc
	ds_read_b128 v[8:11], v14 offset:6144
	s_waitcnt lgkmcnt(1)
	global_store_dwordx4 v[12:13], v[4:7], off
	s_nop 0
	v_add_u32_e32 v4, 0x180, v0
	v_mov_b32_e32 v5, v1
	v_lshlrev_b64 v[4:5], 4, v[4:5]
	v_add_co_u32_e32 v4, vcc, v3, v4
	v_addc_co_u32_e32 v5, vcc, v2, v5, vcc
	s_waitcnt lgkmcnt(0)
	global_store_dwordx4 v[4:5], v[8:11], off
	ds_read_b128 v[4:7], v14 offset:8192
	v_add_u32_e32 v8, 0x200, v0
	v_mov_b32_e32 v9, v1
	v_lshlrev_b64 v[8:9], 4, v[8:9]
	;; [unrolled: 17-line block ×14, first 2 shown]
	v_add_co_u32_e32 v12, vcc, v3, v8
	v_addc_co_u32_e32 v13, vcc, v2, v9, vcc
	ds_read_b128 v[8:11], v14 offset:59392
	s_waitcnt lgkmcnt(1)
	global_store_dwordx4 v[12:13], v[4:7], off
	s_nop 0
	v_add_u32_e32 v4, 0xe80, v0
	v_mov_b32_e32 v5, v1
	v_lshlrev_b64 v[4:5], 4, v[4:5]
	v_add_co_u32_e32 v4, vcc, v3, v4
	v_addc_co_u32_e32 v5, vcc, v2, v5, vcc
	v_cmp_eq_u32_e32 vcc, s0, v0
	s_waitcnt lgkmcnt(0)
	global_store_dwordx4 v[4:5], v[8:11], off
	s_and_b64 exec, exec, vcc
	s_cbranch_execz .LBB0_20
; %bb.19:
	ds_read_b128 v[4:7], v1 offset:61440
	v_add_co_u32_e32 v0, vcc, 0xf000, v3
	v_addc_co_u32_e32 v1, vcc, 0, v2, vcc
	s_waitcnt lgkmcnt(0)
	global_store_dwordx4 v[0:1], v[4:7], off
.LBB0_20:
	s_endpgm
	.section	.rodata,"a",@progbits
	.p2align	6, 0x0
	.amdhsa_kernel fft_rtc_back_len3840_factors_10_6_2_2_2_2_2_2_wgs_128_tpt_128_halfLds_dp_op_CI_CI_unitstride_sbrr_R2C_dirReg
		.amdhsa_group_segment_fixed_size 0
		.amdhsa_private_segment_fixed_size 0
		.amdhsa_kernarg_size 104
		.amdhsa_user_sgpr_count 6
		.amdhsa_user_sgpr_private_segment_buffer 1
		.amdhsa_user_sgpr_dispatch_ptr 0
		.amdhsa_user_sgpr_queue_ptr 0
		.amdhsa_user_sgpr_kernarg_segment_ptr 1
		.amdhsa_user_sgpr_dispatch_id 0
		.amdhsa_user_sgpr_flat_scratch_init 0
		.amdhsa_user_sgpr_private_segment_size 0
		.amdhsa_uses_dynamic_stack 0
		.amdhsa_system_sgpr_private_segment_wavefront_offset 0
		.amdhsa_system_sgpr_workgroup_id_x 1
		.amdhsa_system_sgpr_workgroup_id_y 0
		.amdhsa_system_sgpr_workgroup_id_z 0
		.amdhsa_system_sgpr_workgroup_info 0
		.amdhsa_system_vgpr_workitem_id 0
		.amdhsa_next_free_vgpr 221
		.amdhsa_next_free_sgpr 28
		.amdhsa_reserve_vcc 1
		.amdhsa_reserve_flat_scratch 0
		.amdhsa_float_round_mode_32 0
		.amdhsa_float_round_mode_16_64 0
		.amdhsa_float_denorm_mode_32 3
		.amdhsa_float_denorm_mode_16_64 3
		.amdhsa_dx10_clamp 1
		.amdhsa_ieee_mode 1
		.amdhsa_fp16_overflow 0
		.amdhsa_exception_fp_ieee_invalid_op 0
		.amdhsa_exception_fp_denorm_src 0
		.amdhsa_exception_fp_ieee_div_zero 0
		.amdhsa_exception_fp_ieee_overflow 0
		.amdhsa_exception_fp_ieee_underflow 0
		.amdhsa_exception_fp_ieee_inexact 0
		.amdhsa_exception_int_div_zero 0
	.end_amdhsa_kernel
	.text
.Lfunc_end0:
	.size	fft_rtc_back_len3840_factors_10_6_2_2_2_2_2_2_wgs_128_tpt_128_halfLds_dp_op_CI_CI_unitstride_sbrr_R2C_dirReg, .Lfunc_end0-fft_rtc_back_len3840_factors_10_6_2_2_2_2_2_2_wgs_128_tpt_128_halfLds_dp_op_CI_CI_unitstride_sbrr_R2C_dirReg
                                        ; -- End function
	.section	.AMDGPU.csdata,"",@progbits
; Kernel info:
; codeLenInByte = 29048
; NumSgprs: 32
; NumVgprs: 221
; ScratchSize: 0
; MemoryBound: 0
; FloatMode: 240
; IeeeMode: 1
; LDSByteSize: 0 bytes/workgroup (compile time only)
; SGPRBlocks: 3
; VGPRBlocks: 55
; NumSGPRsForWavesPerEU: 32
; NumVGPRsForWavesPerEU: 221
; Occupancy: 1
; WaveLimiterHint : 1
; COMPUTE_PGM_RSRC2:SCRATCH_EN: 0
; COMPUTE_PGM_RSRC2:USER_SGPR: 6
; COMPUTE_PGM_RSRC2:TRAP_HANDLER: 0
; COMPUTE_PGM_RSRC2:TGID_X_EN: 1
; COMPUTE_PGM_RSRC2:TGID_Y_EN: 0
; COMPUTE_PGM_RSRC2:TGID_Z_EN: 0
; COMPUTE_PGM_RSRC2:TIDIG_COMP_CNT: 0
	.type	__hip_cuid_e5fecf6784119898,@object ; @__hip_cuid_e5fecf6784119898
	.section	.bss,"aw",@nobits
	.globl	__hip_cuid_e5fecf6784119898
__hip_cuid_e5fecf6784119898:
	.byte	0                               ; 0x0
	.size	__hip_cuid_e5fecf6784119898, 1

	.ident	"AMD clang version 19.0.0git (https://github.com/RadeonOpenCompute/llvm-project roc-6.4.0 25133 c7fe45cf4b819c5991fe208aaa96edf142730f1d)"
	.section	".note.GNU-stack","",@progbits
	.addrsig
	.addrsig_sym __hip_cuid_e5fecf6784119898
	.amdgpu_metadata
---
amdhsa.kernels:
  - .args:
      - .actual_access:  read_only
        .address_space:  global
        .offset:         0
        .size:           8
        .value_kind:     global_buffer
      - .offset:         8
        .size:           8
        .value_kind:     by_value
      - .actual_access:  read_only
        .address_space:  global
        .offset:         16
        .size:           8
        .value_kind:     global_buffer
      - .actual_access:  read_only
        .address_space:  global
        .offset:         24
        .size:           8
        .value_kind:     global_buffer
      - .actual_access:  read_only
        .address_space:  global
        .offset:         32
        .size:           8
        .value_kind:     global_buffer
      - .offset:         40
        .size:           8
        .value_kind:     by_value
      - .actual_access:  read_only
        .address_space:  global
        .offset:         48
        .size:           8
        .value_kind:     global_buffer
      - .actual_access:  read_only
        .address_space:  global
        .offset:         56
        .size:           8
        .value_kind:     global_buffer
      - .offset:         64
        .size:           4
        .value_kind:     by_value
      - .actual_access:  read_only
        .address_space:  global
        .offset:         72
        .size:           8
        .value_kind:     global_buffer
      - .actual_access:  read_only
        .address_space:  global
        .offset:         80
        .size:           8
        .value_kind:     global_buffer
      - .actual_access:  read_only
        .address_space:  global
        .offset:         88
        .size:           8
        .value_kind:     global_buffer
      - .actual_access:  write_only
        .address_space:  global
        .offset:         96
        .size:           8
        .value_kind:     global_buffer
    .group_segment_fixed_size: 0
    .kernarg_segment_align: 8
    .kernarg_segment_size: 104
    .language:       OpenCL C
    .language_version:
      - 2
      - 0
    .max_flat_workgroup_size: 128
    .name:           fft_rtc_back_len3840_factors_10_6_2_2_2_2_2_2_wgs_128_tpt_128_halfLds_dp_op_CI_CI_unitstride_sbrr_R2C_dirReg
    .private_segment_fixed_size: 0
    .sgpr_count:     32
    .sgpr_spill_count: 0
    .symbol:         fft_rtc_back_len3840_factors_10_6_2_2_2_2_2_2_wgs_128_tpt_128_halfLds_dp_op_CI_CI_unitstride_sbrr_R2C_dirReg.kd
    .uniform_work_group_size: 1
    .uses_dynamic_stack: false
    .vgpr_count:     221
    .vgpr_spill_count: 0
    .wavefront_size: 64
amdhsa.target:   amdgcn-amd-amdhsa--gfx906
amdhsa.version:
  - 1
  - 2
...

	.end_amdgpu_metadata
